;; amdgpu-corpus repo=ROCm/rocFFT kind=compiled arch=gfx1030 opt=O3
	.text
	.amdgcn_target "amdgcn-amd-amdhsa--gfx1030"
	.amdhsa_code_object_version 6
	.protected	fft_rtc_back_len3750_factors_3_5_5_10_5_wgs_125_tpt_125_halfLds_dp_op_CI_CI_unitstride_sbrr_dirReg ; -- Begin function fft_rtc_back_len3750_factors_3_5_5_10_5_wgs_125_tpt_125_halfLds_dp_op_CI_CI_unitstride_sbrr_dirReg
	.globl	fft_rtc_back_len3750_factors_3_5_5_10_5_wgs_125_tpt_125_halfLds_dp_op_CI_CI_unitstride_sbrr_dirReg
	.p2align	8
	.type	fft_rtc_back_len3750_factors_3_5_5_10_5_wgs_125_tpt_125_halfLds_dp_op_CI_CI_unitstride_sbrr_dirReg,@function
fft_rtc_back_len3750_factors_3_5_5_10_5_wgs_125_tpt_125_halfLds_dp_op_CI_CI_unitstride_sbrr_dirReg: ; @fft_rtc_back_len3750_factors_3_5_5_10_5_wgs_125_tpt_125_halfLds_dp_op_CI_CI_unitstride_sbrr_dirReg
; %bb.0:
	s_clause 0x2
	s_load_dwordx4 s[12:15], s[4:5], 0x0
	s_load_dwordx4 s[8:11], s[4:5], 0x58
	;; [unrolled: 1-line block ×3, first 2 shown]
	v_mul_u32_u24_e32 v2, 0x20d, v0
	v_mov_b32_e32 v1, 0
	s_mov_b64 s[30:31], s[2:3]
	s_mov_b64 s[28:29], s[0:1]
	v_mov_b32_e32 v4, 0
	v_add_nc_u32_sdwa v6, s6, v2 dst_sel:DWORD dst_unused:UNUSED_PAD src0_sel:DWORD src1_sel:WORD_1
	v_mov_b32_e32 v7, v1
	v_mov_b32_e32 v5, 0
	s_add_u32 s28, s28, s7
	s_addc_u32 s29, s29, 0
	s_waitcnt lgkmcnt(0)
	v_cmp_lt_u64_e64 s0, s[14:15], 2
	s_and_b32 vcc_lo, exec_lo, s0
	s_cbranch_vccnz .LBB0_8
; %bb.1:
	s_load_dwordx2 s[0:1], s[4:5], 0x10
	v_mov_b32_e32 v4, 0
	v_mov_b32_e32 v5, 0
	s_add_u32 s2, s18, 8
	s_addc_u32 s3, s19, 0
	s_add_u32 s6, s16, 8
	s_addc_u32 s7, s17, 0
	v_mov_b32_e32 v161, v5
	v_mov_b32_e32 v160, v4
	s_mov_b64 s[22:23], 1
	s_waitcnt lgkmcnt(0)
	s_add_u32 s20, s0, 8
	s_addc_u32 s21, s1, 0
.LBB0_2:                                ; =>This Inner Loop Header: Depth=1
	s_load_dwordx2 s[24:25], s[20:21], 0x0
                                        ; implicit-def: $vgpr162_vgpr163
	s_mov_b32 s0, exec_lo
	s_waitcnt lgkmcnt(0)
	v_or_b32_e32 v2, s25, v7
	v_cmpx_ne_u64_e32 0, v[1:2]
	s_xor_b32 s1, exec_lo, s0
	s_cbranch_execz .LBB0_4
; %bb.3:                                ;   in Loop: Header=BB0_2 Depth=1
	v_cvt_f32_u32_e32 v2, s24
	v_cvt_f32_u32_e32 v3, s25
	s_sub_u32 s0, 0, s24
	s_subb_u32 s26, 0, s25
	v_fmac_f32_e32 v2, 0x4f800000, v3
	v_rcp_f32_e32 v2, v2
	v_mul_f32_e32 v2, 0x5f7ffffc, v2
	v_mul_f32_e32 v3, 0x2f800000, v2
	v_trunc_f32_e32 v3, v3
	v_fmac_f32_e32 v2, 0xcf800000, v3
	v_cvt_u32_f32_e32 v3, v3
	v_cvt_u32_f32_e32 v2, v2
	v_mul_lo_u32 v8, s0, v3
	v_mul_hi_u32 v9, s0, v2
	v_mul_lo_u32 v10, s26, v2
	v_add_nc_u32_e32 v8, v9, v8
	v_mul_lo_u32 v9, s0, v2
	v_add_nc_u32_e32 v8, v8, v10
	v_mul_hi_u32 v10, v2, v9
	v_mul_lo_u32 v11, v2, v8
	v_mul_hi_u32 v12, v2, v8
	v_mul_hi_u32 v13, v3, v9
	v_mul_lo_u32 v9, v3, v9
	v_mul_hi_u32 v14, v3, v8
	v_mul_lo_u32 v8, v3, v8
	v_add_co_u32 v10, vcc_lo, v10, v11
	v_add_co_ci_u32_e32 v11, vcc_lo, 0, v12, vcc_lo
	v_add_co_u32 v9, vcc_lo, v10, v9
	v_add_co_ci_u32_e32 v9, vcc_lo, v11, v13, vcc_lo
	v_add_co_ci_u32_e32 v10, vcc_lo, 0, v14, vcc_lo
	v_add_co_u32 v8, vcc_lo, v9, v8
	v_add_co_ci_u32_e32 v9, vcc_lo, 0, v10, vcc_lo
	v_add_co_u32 v2, vcc_lo, v2, v8
	v_add_co_ci_u32_e32 v3, vcc_lo, v3, v9, vcc_lo
	v_mul_hi_u32 v8, s0, v2
	v_mul_lo_u32 v10, s26, v2
	v_mul_lo_u32 v9, s0, v3
	v_add_nc_u32_e32 v8, v8, v9
	v_mul_lo_u32 v9, s0, v2
	v_add_nc_u32_e32 v8, v8, v10
	v_mul_hi_u32 v10, v2, v9
	v_mul_lo_u32 v11, v2, v8
	v_mul_hi_u32 v12, v2, v8
	v_mul_hi_u32 v13, v3, v9
	v_mul_lo_u32 v9, v3, v9
	v_mul_hi_u32 v14, v3, v8
	v_mul_lo_u32 v8, v3, v8
	v_add_co_u32 v10, vcc_lo, v10, v11
	v_add_co_ci_u32_e32 v11, vcc_lo, 0, v12, vcc_lo
	v_add_co_u32 v9, vcc_lo, v10, v9
	v_add_co_ci_u32_e32 v9, vcc_lo, v11, v13, vcc_lo
	v_add_co_ci_u32_e32 v10, vcc_lo, 0, v14, vcc_lo
	v_add_co_u32 v8, vcc_lo, v9, v8
	v_add_co_ci_u32_e32 v9, vcc_lo, 0, v10, vcc_lo
	v_add_co_u32 v8, vcc_lo, v2, v8
	v_add_co_ci_u32_e32 v10, vcc_lo, v3, v9, vcc_lo
	v_mul_hi_u32 v12, v6, v8
	v_mad_u64_u32 v[8:9], null, v7, v8, 0
	v_mad_u64_u32 v[2:3], null, v6, v10, 0
	;; [unrolled: 1-line block ×3, first 2 shown]
	v_add_co_u32 v2, vcc_lo, v12, v2
	v_add_co_ci_u32_e32 v3, vcc_lo, 0, v3, vcc_lo
	v_add_co_u32 v2, vcc_lo, v2, v8
	v_add_co_ci_u32_e32 v2, vcc_lo, v3, v9, vcc_lo
	v_add_co_ci_u32_e32 v3, vcc_lo, 0, v11, vcc_lo
	v_add_co_u32 v8, vcc_lo, v2, v10
	v_add_co_ci_u32_e32 v9, vcc_lo, 0, v3, vcc_lo
	v_mul_lo_u32 v10, s25, v8
	v_mad_u64_u32 v[2:3], null, s24, v8, 0
	v_mul_lo_u32 v11, s24, v9
	v_sub_co_u32 v2, vcc_lo, v6, v2
	v_add3_u32 v3, v3, v11, v10
	v_sub_nc_u32_e32 v10, v7, v3
	v_subrev_co_ci_u32_e64 v10, s0, s25, v10, vcc_lo
	v_add_co_u32 v11, s0, v8, 2
	v_add_co_ci_u32_e64 v12, s0, 0, v9, s0
	v_sub_co_u32 v13, s0, v2, s24
	v_sub_co_ci_u32_e32 v3, vcc_lo, v7, v3, vcc_lo
	v_subrev_co_ci_u32_e64 v10, s0, 0, v10, s0
	v_cmp_le_u32_e32 vcc_lo, s24, v13
	v_cmp_eq_u32_e64 s0, s25, v3
	v_cndmask_b32_e64 v13, 0, -1, vcc_lo
	v_cmp_le_u32_e32 vcc_lo, s25, v10
	v_cndmask_b32_e64 v14, 0, -1, vcc_lo
	v_cmp_le_u32_e32 vcc_lo, s24, v2
	;; [unrolled: 2-line block ×3, first 2 shown]
	v_cndmask_b32_e64 v15, 0, -1, vcc_lo
	v_cmp_eq_u32_e32 vcc_lo, s25, v10
	v_cndmask_b32_e64 v2, v15, v2, s0
	v_cndmask_b32_e32 v10, v14, v13, vcc_lo
	v_add_co_u32 v13, vcc_lo, v8, 1
	v_add_co_ci_u32_e32 v14, vcc_lo, 0, v9, vcc_lo
	v_cmp_ne_u32_e32 vcc_lo, 0, v10
	v_cndmask_b32_e32 v3, v14, v12, vcc_lo
	v_cndmask_b32_e32 v10, v13, v11, vcc_lo
	v_cmp_ne_u32_e32 vcc_lo, 0, v2
	v_cndmask_b32_e32 v163, v9, v3, vcc_lo
	v_cndmask_b32_e32 v162, v8, v10, vcc_lo
.LBB0_4:                                ;   in Loop: Header=BB0_2 Depth=1
	s_andn2_saveexec_b32 s0, s1
	s_cbranch_execz .LBB0_6
; %bb.5:                                ;   in Loop: Header=BB0_2 Depth=1
	v_cvt_f32_u32_e32 v2, s24
	s_sub_i32 s1, 0, s24
	v_mov_b32_e32 v163, v1
	v_rcp_iflag_f32_e32 v2, v2
	v_mul_f32_e32 v2, 0x4f7ffffe, v2
	v_cvt_u32_f32_e32 v2, v2
	v_mul_lo_u32 v3, s1, v2
	v_mul_hi_u32 v3, v2, v3
	v_add_nc_u32_e32 v2, v2, v3
	v_mul_hi_u32 v2, v6, v2
	v_mul_lo_u32 v3, v2, s24
	v_add_nc_u32_e32 v8, 1, v2
	v_sub_nc_u32_e32 v3, v6, v3
	v_subrev_nc_u32_e32 v9, s24, v3
	v_cmp_le_u32_e32 vcc_lo, s24, v3
	v_cndmask_b32_e32 v3, v3, v9, vcc_lo
	v_cndmask_b32_e32 v2, v2, v8, vcc_lo
	v_cmp_le_u32_e32 vcc_lo, s24, v3
	v_add_nc_u32_e32 v8, 1, v2
	v_cndmask_b32_e32 v162, v2, v8, vcc_lo
.LBB0_6:                                ;   in Loop: Header=BB0_2 Depth=1
	s_or_b32 exec_lo, exec_lo, s0
	v_mul_lo_u32 v8, v163, s24
	v_mul_lo_u32 v9, v162, s25
	s_load_dwordx2 s[0:1], s[6:7], 0x0
	v_mad_u64_u32 v[2:3], null, v162, s24, 0
	s_load_dwordx2 s[24:25], s[2:3], 0x0
	s_add_u32 s22, s22, 1
	s_addc_u32 s23, s23, 0
	s_add_u32 s2, s2, 8
	s_addc_u32 s3, s3, 0
	s_add_u32 s6, s6, 8
	v_add3_u32 v3, v3, v9, v8
	v_sub_co_u32 v2, vcc_lo, v6, v2
	s_addc_u32 s7, s7, 0
	s_add_u32 s20, s20, 8
	v_sub_co_ci_u32_e32 v3, vcc_lo, v7, v3, vcc_lo
	s_addc_u32 s21, s21, 0
	s_waitcnt lgkmcnt(0)
	v_mul_lo_u32 v6, s0, v3
	v_mul_lo_u32 v7, s1, v2
	v_mad_u64_u32 v[4:5], null, s0, v2, v[4:5]
	v_mul_lo_u32 v3, s24, v3
	v_mul_lo_u32 v8, s25, v2
	v_mad_u64_u32 v[160:161], null, s24, v2, v[160:161]
	v_cmp_ge_u64_e64 s0, s[22:23], s[14:15]
	v_add3_u32 v5, v7, v5, v6
	v_add3_u32 v161, v8, v161, v3
	s_and_b32 vcc_lo, exec_lo, s0
	s_cbranch_vccnz .LBB0_9
; %bb.7:                                ;   in Loop: Header=BB0_2 Depth=1
	v_mov_b32_e32 v6, v162
	v_mov_b32_e32 v7, v163
	s_branch .LBB0_2
.LBB0_8:
	v_mov_b32_e32 v161, v5
	v_mov_b32_e32 v163, v7
	;; [unrolled: 1-line block ×4, first 2 shown]
.LBB0_9:
	s_load_dwordx2 s[0:1], s[4:5], 0x28
	v_mul_hi_u32 v1, 0x20c49bb, v0
	s_lshl_b64 s[4:5], s[14:15], 3
                                        ; implicit-def: $vgpr180
	s_add_u32 s2, s18, s4
	s_addc_u32 s3, s19, s5
	s_waitcnt lgkmcnt(0)
	v_cmp_gt_u64_e32 vcc_lo, s[0:1], v[162:163]
	v_cmp_le_u64_e64 s0, s[0:1], v[162:163]
	s_and_saveexec_b32 s1, s0
	s_xor_b32 s0, exec_lo, s1
; %bb.10:
	v_mul_u32_u24_e32 v1, 0x7d, v1
                                        ; implicit-def: $vgpr4_vgpr5
	v_sub_nc_u32_e32 v180, v0, v1
                                        ; implicit-def: $vgpr1
                                        ; implicit-def: $vgpr0
; %bb.11:
	s_or_saveexec_b32 s1, s0
                                        ; implicit-def: $vgpr70_vgpr71
                                        ; implicit-def: $vgpr98_vgpr99
                                        ; implicit-def: $vgpr94_vgpr95
                                        ; implicit-def: $vgpr74_vgpr75
                                        ; implicit-def: $vgpr106_vgpr107
                                        ; implicit-def: $vgpr102_vgpr103
                                        ; implicit-def: $vgpr78_vgpr79
                                        ; implicit-def: $vgpr114_vgpr115
                                        ; implicit-def: $vgpr110_vgpr111
                                        ; implicit-def: $vgpr82_vgpr83
                                        ; implicit-def: $vgpr122_vgpr123
                                        ; implicit-def: $vgpr118_vgpr119
                                        ; implicit-def: $vgpr86_vgpr87
                                        ; implicit-def: $vgpr126_vgpr127
                                        ; implicit-def: $vgpr130_vgpr131
                                        ; implicit-def: $vgpr90_vgpr91
                                        ; implicit-def: $vgpr134_vgpr135
                                        ; implicit-def: $vgpr138_vgpr139
                                        ; implicit-def: $vgpr12_vgpr13
                                        ; implicit-def: $vgpr6_vgpr7
                                        ; implicit-def: $vgpr16_vgpr17
                                        ; implicit-def: $vgpr28_vgpr29
                                        ; implicit-def: $vgpr24_vgpr25
                                        ; implicit-def: $vgpr32_vgpr33
                                        ; implicit-def: $vgpr36_vgpr37
                                        ; implicit-def: $vgpr40_vgpr41
                                        ; implicit-def: $vgpr2_vgpr3
                                        ; implicit-def: $vgpr62_vgpr63
                                        ; implicit-def: $vgpr66_vgpr67
                                        ; implicit-def: $vgpr20_vgpr21
	s_xor_b32 exec_lo, exec_lo, s1
	s_cbranch_execz .LBB0_13
; %bb.12:
	s_add_u32 s4, s16, s4
	s_addc_u32 s5, s17, s5
	s_load_dwordx2 s[4:5], s[4:5], 0x0
	s_waitcnt lgkmcnt(0)
	v_mul_lo_u32 v6, s5, v162
	v_mul_lo_u32 v7, s4, v163
	v_mad_u64_u32 v[2:3], null, s4, v162, 0
	v_add3_u32 v3, v3, v7, v6
	v_mul_u32_u24_e32 v6, 0x7d, v1
	v_lshlrev_b64 v[1:2], 4, v[2:3]
	v_lshlrev_b64 v[3:4], 4, v[4:5]
	v_sub_nc_u32_e32 v180, v0, v6
	v_add_co_u32 v0, s0, s8, v1
	v_add_co_ci_u32_e64 v1, s0, s9, v2, s0
	v_lshlrev_b32_e32 v2, 4, v180
	v_add_co_u32 v0, s0, v0, v3
	v_add_co_ci_u32_e64 v1, s0, v1, v4, s0
	v_add_co_u32 v4, s0, v0, v2
	v_add_co_ci_u32_e64 v5, s0, 0, v1, s0
	s_clause 0x1
	global_load_dwordx4 v[18:21], v[4:5], off
	global_load_dwordx4 v[0:3], v[4:5], off offset:2000
	v_add_co_u32 v6, s0, 0x4800, v4
	v_add_co_ci_u32_e64 v7, s0, 0, v5, s0
	v_add_co_u32 v8, s0, 0x9800, v4
	v_add_co_ci_u32_e64 v9, s0, 0, v5, s0
	;; [unrolled: 2-line block ×8, first 2 shown]
	s_clause 0x1
	global_load_dwordx4 v[64:67], v[6:7], off offset:1568
	global_load_dwordx4 v[60:63], v[8:9], off offset:1088
	v_add_co_u32 v6, s0, 0x6000, v4
	v_add_co_ci_u32_e64 v7, s0, 0, v5, s0
	v_add_co_u32 v8, s0, 0xb000, v4
	v_add_co_ci_u32_e64 v9, s0, 0, v5, s0
	;; [unrolled: 2-line block ×20, first 2 shown]
	s_clause 0x19
	global_load_dwordx4 v[38:41], v[10:11], off offset:1520
	global_load_dwordx4 v[34:37], v[12:13], off offset:1040
	;; [unrolled: 1-line block ×26, first 2 shown]
.LBB0_13:
	s_or_b32 exec_lo, exec_lo, s1
	s_waitcnt vmcnt(26)
	v_add_f64 v[8:9], v[60:61], v[64:65]
	s_waitcnt vmcnt(24)
	v_add_f64 v[42:43], v[34:35], v[38:39]
	;; [unrolled: 2-line block ×4, first 2 shown]
	v_add_f64 v[50:51], v[38:39], v[0:1]
	s_waitcnt vmcnt(15)
	v_add_f64 v[149:150], v[88:89], v[132:133]
	v_add_f64 v[46:47], v[64:65], v[18:19]
	v_add_f64 v[48:49], v[66:67], -v[62:63]
	v_add_f64 v[52:53], v[40:41], v[2:3]
	v_add_f64 v[54:55], v[36:37], v[40:41]
	v_add_f64 v[40:41], v[40:41], -v[36:37]
	v_add_f64 v[141:142], v[38:39], -v[34:35]
	v_add_f64 v[38:39], v[22:23], v[30:31]
	v_add_f64 v[56:57], v[24:25], -v[28:29]
	s_mov_b32 s0, 0xe8584caa
	s_mov_b32 s1, 0xbfebb67a
	v_add_f64 v[58:59], v[4:5], v[14:15]
	v_add_f64 v[145:146], v[6:7], -v[12:13]
	s_waitcnt vmcnt(9)
	v_add_f64 v[153:154], v[80:81], v[120:121]
	s_waitcnt vmcnt(0)
	v_add_f64 v[172:173], v[68:69], v[96:97]
	v_add_f64 v[147:148], v[132:133], v[136:137]
	;; [unrolled: 1-line block ×3, first 2 shown]
	v_fma_f64 v[8:9], v[8:9], -0.5, v[18:19]
	v_fma_f64 v[0:1], v[42:43], -0.5, v[0:1]
	;; [unrolled: 1-line block ×3, first 2 shown]
	v_add_f64 v[42:43], v[84:85], v[124:125]
	v_fma_f64 v[14:15], v[143:144], -0.5, v[14:15]
	v_add_f64 v[30:31], v[134:135], -v[90:91]
	v_add_f64 v[34:35], v[34:35], v[50:51]
	v_fma_f64 v[50:51], v[149:150], -0.5, v[136:137]
	v_add_f64 v[151:152], v[124:125], v[128:129]
	v_add_f64 v[46:47], v[60:61], v[46:47]
	;; [unrolled: 1-line block ×3, first 2 shown]
	v_mad_u32_u24 v140, v180, 24, 0
	v_add_f64 v[38:39], v[26:27], v[38:39]
	v_add_f64 v[157:158], v[120:121], v[116:117]
	;; [unrolled: 1-line block ×3, first 2 shown]
	s_mov_b32 s5, 0x3febb67a
	v_add_nc_u32_e32 v159, 0xbb8, v140
	v_add_nc_u32_e32 v196, 0x1770, v140
	v_fma_f64 v[116:117], v[153:154], -0.5, v[116:117]
	v_fma_f64 v[153:154], v[54:55], -0.5, v[2:3]
	;; [unrolled: 1-line block ×3, first 2 shown]
	v_add_f64 v[174:175], v[104:105], v[100:101]
	v_fma_f64 v[136:137], v[48:49], s[0:1], v[8:9]
	v_fma_f64 v[143:144], v[40:41], s[0:1], v[0:1]
	;; [unrolled: 1-line block ×3, first 2 shown]
	v_fma_f64 v[42:43], v[42:43], -0.5, v[128:129]
	v_add_f64 v[128:129], v[36:37], v[52:53]
	v_add_f64 v[52:53], v[10:11], v[58:59]
	v_fma_f64 v[92:93], v[145:146], s[0:1], v[14:15]
	s_mov_b32 s4, s0
	v_fma_f64 v[36:37], v[168:169], -0.5, v[100:101]
	v_add_f64 v[58:59], v[88:89], v[147:148]
	v_fma_f64 v[100:101], v[30:31], s[0:1], v[50:51]
	v_fma_f64 v[8:9], v[48:49], s[4:5], v[8:9]
	;; [unrolled: 1-line block ×4, first 2 shown]
	v_add_f64 v[44:45], v[126:127], -v[86:87]
	v_add_f64 v[170:171], v[114:115], -v[78:79]
	;; [unrolled: 1-line block ×3, first 2 shown]
	v_fma_f64 v[2:3], v[166:167], -0.5, v[108:109]
	v_add_f64 v[155:156], v[122:123], -v[82:83]
	v_add_f64 v[164:165], v[112:113], v[108:109]
	v_add_f64 v[178:179], v[98:99], -v[70:71]
	v_add_nc_u32_e32 v197, 0x2328, v140
	ds_write2_b64 v140, v[46:47], v[136:137] offset1:1
	ds_write2_b64 v159, v[34:35], v[143:144] offset1:1
	;; [unrolled: 1-line block ×3, first 2 shown]
	v_add_f64 v[34:35], v[84:85], v[151:152]
	v_add_nc_u32_e32 v198, 0x2ee0, v140
	v_fma_f64 v[14:15], v[145:146], s[4:5], v[14:15]
	v_fma_f64 v[30:31], v[30:31], s[4:5], v[50:51]
	v_add_f64 v[46:47], v[80:81], v[157:158]
	v_add_f64 v[56:57], v[72:73], v[174:175]
	;; [unrolled: 1-line block ×3, first 2 shown]
	v_add_nc_u32_e32 v168, 0x3aa0, v140
	v_add_nc_u32_e32 v169, 0x4658, v140
	;; [unrolled: 1-line block ×3, first 2 shown]
	v_lshl_add_u32 v186, v180, 3, 0
	v_add_f64 v[60:61], v[64:65], -v[60:61]
	v_add_f64 v[151:152], v[90:91], v[134:135]
	v_fma_f64 v[38:39], v[44:45], s[0:1], v[42:43]
	v_fma_f64 v[40:41], v[44:45], s[4:5], v[42:43]
	v_fma_f64 v[108:109], v[176:177], s[0:1], v[36:37]
	v_fma_f64 v[50:51], v[170:171], s[0:1], v[2:3]
	v_fma_f64 v[2:3], v[170:171], s[4:5], v[2:3]
	v_fma_f64 v[42:43], v[155:156], s[0:1], v[116:117]
	ds_write2_b64 v197, v[52:53], v[92:93] offset1:1
	ds_write2_b64 v198, v[58:59], v[100:101] offset1:1
	ds_write_b64 v140, v[34:35] offset:15000
	ds_write_b64 v140, v[8:9] offset:16
	;; [unrolled: 1-line block ×4, first 2 shown]
	v_add_f64 v[0:1], v[28:29], v[24:25]
	v_fma_f64 v[44:45], v[155:156], s[4:5], v[116:117]
	v_fma_f64 v[36:37], v[176:177], s[4:5], v[36:37]
	v_add_f64 v[48:49], v[76:77], v[164:165]
	v_fma_f64 v[116:117], v[178:179], s[0:1], v[54:55]
	v_fma_f64 v[54:55], v[178:179], s[4:5], v[54:55]
	v_add_f64 v[100:101], v[22:23], -v[26:27]
	v_add_f64 v[22:23], v[62:63], v[66:67]
	ds_write_b64 v140, v[14:15] offset:9016
	ds_write_b64 v140, v[30:31] offset:12016
	v_add_f64 v[8:9], v[12:13], v[6:7]
	v_add_f64 v[14:15], v[6:7], v[16:17]
	v_add_nc_u32_e32 v171, 0x5dc0, v140
	v_add_nc_u32_e32 v170, 0x5208, v140
	;; [unrolled: 1-line block ×4, first 2 shown]
	ds_write2_b64 v168, v[38:39], v[40:41] offset1:1
	ds_write_b64 v140, v[46:47] offset:18000
	ds_write2_b64 v169, v[42:43], v[44:45] offset1:1
	ds_write2_b64 v170, v[48:49], v[50:51] offset1:1
	v_fma_f64 v[92:93], v[0:1], -0.5, v[32:33]
	v_add_f64 v[0:1], v[24:25], v[32:33]
	ds_write2_b64 v171, v[56:57], v[108:109] offset1:1
	ds_write_b64 v140, v[2:3] offset:21016
	ds_write_b64 v140, v[36:37] offset:24016
	;; [unrolled: 1-line block ×3, first 2 shown]
	ds_write2_b64 v172, v[116:117], v[54:55] offset1:1
	v_fma_f64 v[136:137], v[141:142], s[4:5], v[153:154]
	v_add_nc_u32_e32 v191, 0xc00, v186
	v_add_nc_u32_e32 v192, 0x2400, v186
	;; [unrolled: 1-line block ×9, first 2 shown]
	v_fma_f64 v[64:65], v[22:23], -0.5, v[20:21]
	s_load_dwordx2 s[2:3], s[2:3], 0x0
	s_waitcnt lgkmcnt(0)
	s_barrier
	buffer_gl0_inv
	v_add_nc_u32_e32 v190, 0x3400, v186
	v_add_nc_u32_e32 v189, 0x4c00, v186
	v_fma_f64 v[108:109], v[8:9], -0.5, v[16:17]
	v_add_f64 v[116:117], v[4:5], -v[10:11]
	ds_read2_b64 v[8:11], v186 offset1:125
	ds_read2_b64 v[52:55], v202 offset0:110 offset1:235
	ds_read2_b64 v[56:59], v194 offset0:92 offset1:217
	;; [unrolled: 1-line block ×9, first 2 shown]
	v_add_f64 v[143:144], v[28:29], v[0:1]
	ds_read2_b64 v[0:3], v191 offset0:116 offset1:241
	v_add_f64 v[147:148], v[12:13], v[14:15]
	v_add_f64 v[66:67], v[66:67], v[20:21]
	ds_read2_b64 v[32:35], v192 offset0:98 offset1:223
	ds_read2_b64 v[28:31], v193 offset0:80 offset1:205
	;; [unrolled: 1-line block ×3, first 2 shown]
	v_mov_b32_e32 v242, v156
	v_add_f64 v[155:156], v[86:87], v[126:127]
	v_add_f64 v[126:127], v[126:127], v[130:131]
	v_add_nc_u32_e32 v195, 0x6c00, v186
	v_add_f64 v[164:165], v[78:79], v[114:115]
	v_add_f64 v[157:158], v[82:83], v[122:123]
	;; [unrolled: 1-line block ×3, first 2 shown]
	v_add_f64 v[88:89], v[132:133], -v[88:89]
	ds_read2_b64 v[20:23], v195 offset0:44 offset1:169
	s_waitcnt lgkmcnt(0)
	s_barrier
	buffer_gl0_inv
	ds_write2_b64 v159, v[128:129], v[136:137] offset1:1
	v_add_f64 v[128:129], v[70:71], v[98:99]
	v_fma_f64 v[132:133], v[60:61], s[4:5], v[64:65]
	v_fma_f64 v[60:61], v[60:61], s[0:1], v[64:65]
	;; [unrolled: 1-line block ×5, first 2 shown]
	v_add_f64 v[134:135], v[134:135], v[138:139]
	v_add_f64 v[62:63], v[62:63], v[66:67]
	v_fma_f64 v[66:67], v[151:152], -0.5, v[138:139]
	v_add_f64 v[114:115], v[114:115], v[110:111]
	v_fma_f64 v[130:131], v[155:156], -0.5, v[130:131]
	v_add_f64 v[64:65], v[86:87], v[126:127]
	v_fma_f64 v[86:87], v[141:142], s[0:1], v[153:154]
	v_add_f64 v[98:99], v[98:99], v[94:95]
	v_add_f64 v[84:85], v[124:125], -v[84:85]
	v_add_f64 v[76:77], v[112:113], -v[76:77]
	v_fma_f64 v[110:111], v[164:165], -0.5, v[110:111]
	v_add_f64 v[68:69], v[96:97], -v[68:69]
	v_fma_f64 v[96:97], v[116:117], s[0:1], v[108:109]
	v_add_f64 v[122:123], v[122:123], v[118:119]
	v_add_f64 v[106:107], v[106:107], v[102:103]
	v_add_f64 v[80:81], v[120:121], -v[80:81]
	v_fma_f64 v[118:119], v[157:158], -0.5, v[118:119]
	v_add_f64 v[72:73], v[104:105], -v[72:73]
	v_fma_f64 v[102:103], v[166:167], -0.5, v[102:103]
	v_fma_f64 v[94:95], v[128:129], -0.5, v[94:95]
	v_add_nc_u32_e32 v182, 0x7d, v180
	ds_write_b64 v140, v[60:61] offset:16
	v_and_b32_e32 v60, 0xff, v180
	ds_write2_b64 v196, v[143:144], v[145:146] offset1:1
	ds_write2_b64 v197, v[147:148], v[149:150] offset1:1
	;; [unrolled: 1-line block ×3, first 2 shown]
	ds_write_b64 v140, v[86:87] offset:3016
	ds_write_b64 v140, v[92:93] offset:6016
	;; [unrolled: 1-line block ×3, first 2 shown]
	v_and_b32_e32 v86, 0xff, v182
	v_add_f64 v[90:91], v[90:91], v[134:135]
	v_add_f64 v[78:79], v[78:79], v[114:115]
	v_fma_f64 v[100:101], v[88:89], s[4:5], v[66:67]
	v_add_f64 v[70:71], v[70:71], v[98:99]
	v_fma_f64 v[62:63], v[84:85], s[4:5], v[130:131]
	v_fma_f64 v[84:85], v[84:85], s[0:1], v[130:131]
	;; [unrolled: 1-line block ×3, first 2 shown]
	v_add_f64 v[82:83], v[82:83], v[122:123]
	v_fma_f64 v[66:67], v[88:89], s[0:1], v[66:67]
	v_fma_f64 v[76:77], v[76:77], s[0:1], v[110:111]
	v_add_f64 v[74:75], v[74:75], v[106:107]
	v_fma_f64 v[88:89], v[80:81], s[4:5], v[118:119]
	v_fma_f64 v[80:81], v[80:81], s[0:1], v[118:119]
	;; [unrolled: 1-line block ×3, first 2 shown]
	v_mul_lo_u16 v60, 0xab, v60
	v_mul_lo_u16 v61, 0xab, v86
	v_fma_f64 v[72:73], v[72:73], s[0:1], v[102:103]
	v_fma_f64 v[102:103], v[68:69], s[4:5], v[94:95]
	;; [unrolled: 1-line block ×3, first 2 shown]
	v_lshrrev_b16 v167, 9, v60
	v_lshrrev_b16 v164, 9, v61
	v_mov_b32_e32 v203, 6
	buffer_store_dword v86, off, s[28:31], 0 ; 4-byte Folded Spill
	ds_write2_b64 v198, v[90:91], v[100:101] offset1:1
	ds_write_b64 v140, v[66:67] offset:12016
	ds_write_b64 v140, v[64:65] offset:15000
	v_mul_lo_u16 v60, v167, 3
	v_mul_lo_u16 v61, v164, 3
	ds_write2_b64 v168, v[62:63], v[84:85] offset1:1
	ds_write_b64 v140, v[82:83] offset:18000
	ds_write2_b64 v169, v[88:89], v[80:81] offset1:1
	ds_write2_b64 v170, v[78:79], v[98:99] offset1:1
	ds_write_b64 v140, v[76:77] offset:21016
	ds_write2_b64 v171, v[74:75], v[104:105] offset1:1
	ds_write_b64 v140, v[72:73] offset:24016
	ds_write_b64 v140, v[70:71] offset:27000
	v_sub_nc_u16 v165, v180, v60
	v_sub_nc_u16 v166, v182, v61
	ds_write2_b64 v172, v[102:103], v[68:69] offset1:1
	s_waitcnt lgkmcnt(0)
	s_waitcnt_vscnt null, 0x0
	s_barrier
	v_lshlrev_b32_sdwa v76, v203, v165 dst_sel:DWORD dst_unused:UNUSED_PAD src0_sel:DWORD src1_sel:BYTE_0
	v_lshlrev_b32_sdwa v77, v203, v166 dst_sel:DWORD dst_unused:UNUSED_PAD src0_sel:DWORD src1_sel:BYTE_0
	buffer_gl0_inv
	s_clause 0x3
	global_load_dwordx4 v[60:63], v76, s[12:13]
	global_load_dwordx4 v[72:75], v77, s[12:13]
	global_load_dwordx4 v[68:71], v76, s[12:13] offset:16
	global_load_dwordx4 v[64:67], v77, s[12:13] offset:16
	v_add_nc_u32_e32 v204, 0xfa, v180
	v_mov_b32_e32 v100, 0xaaab
	v_add_nc_u32_e32 v196, 0x177, v180
	s_clause 0x2
	global_load_dwordx4 v[84:87], v76, s[12:13] offset:32
	global_load_dwordx4 v[80:83], v76, s[12:13] offset:48
	;; [unrolled: 1-line block ×3, first 2 shown]
	v_mul_u32_u24_sdwa v78, v204, v100 dst_sel:DWORD dst_unused:UNUSED_PAD src0_sel:WORD_0 src1_sel:DWORD
	v_mul_u32_u24_sdwa v79, v196, v100 dst_sel:DWORD dst_unused:UNUSED_PAD src0_sel:WORD_0 src1_sel:DWORD
	v_add_nc_u32_e32 v200, 0x1f4, v180
	v_add_nc_u32_e32 v181, 0x271, v180
	v_mov_b32_e32 v174, 0x78
	v_lshrrev_b32_e32 v168, 17, v78
	v_lshrrev_b32_e32 v205, 17, v79
	v_mul_u32_u24_sdwa v101, v200, v100 dst_sel:DWORD dst_unused:UNUSED_PAD src0_sel:WORD_0 src1_sel:DWORD
	v_mul_u32_u24_sdwa v104, v181, v100 dst_sel:DWORD dst_unused:UNUSED_PAD src0_sel:WORD_0 src1_sel:DWORD
	v_mov_b32_e32 v201, 3
	v_mul_lo_u16 v78, v168, 3
	v_mul_lo_u16 v79, v205, 3
	v_lshrrev_b32_e32 v208, 17, v101
	v_lshrrev_b32_e32 v207, 17, v104
	v_mul_u32_u24_sdwa v175, v167, v174 dst_sel:DWORD dst_unused:UNUSED_PAD src0_sel:WORD_0 src1_sel:DWORD
	v_sub_nc_u16 v169, v204, v78
	v_sub_nc_u16 v206, v196, v79
	global_load_dwordx4 v[76:79], v77, s[12:13] offset:48
	v_mul_lo_u16 v109, v208, 3
	v_mul_lo_u16 v117, v207, 3
	v_lshlrev_b32_sdwa v108, v203, v169 dst_sel:DWORD dst_unused:UNUSED_PAD src0_sel:DWORD src1_sel:WORD_0
	v_lshlrev_b32_sdwa v116, v203, v206 dst_sel:DWORD dst_unused:UNUSED_PAD src0_sel:DWORD src1_sel:WORD_0
	s_clause 0x4
	global_load_dwordx4 v[96:99], v108, s[12:13]
	global_load_dwordx4 v[92:95], v116, s[12:13]
	global_load_dwordx4 v[100:103], v108, s[12:13] offset:16
	global_load_dwordx4 v[112:115], v116, s[12:13] offset:16
	;; [unrolled: 1-line block ×3, first 2 shown]
	v_sub_nc_u16 v209, v200, v109
	s_clause 0x1
	global_load_dwordx4 v[120:123], v116, s[12:13] offset:32
	global_load_dwordx4 v[108:111], v108, s[12:13] offset:48
	v_sub_nc_u16 v210, v181, v117
	global_load_dwordx4 v[116:119], v116, s[12:13] offset:48
	v_mul_u32_u24_sdwa v174, v164, v174 dst_sel:DWORD dst_unused:UNUSED_PAD src0_sel:WORD_0 src1_sel:DWORD
	v_lshlrev_b32_sdwa v128, v203, v209 dst_sel:DWORD dst_unused:UNUSED_PAD src0_sel:DWORD src1_sel:WORD_0
	v_lshlrev_b32_sdwa v198, v201, v165 dst_sel:DWORD dst_unused:UNUSED_PAD src0_sel:DWORD src1_sel:BYTE_0
	v_lshlrev_b32_sdwa v129, v203, v210 dst_sel:DWORD dst_unused:UNUSED_PAD src0_sel:DWORD src1_sel:WORD_0
	s_clause 0x7
	global_load_dwordx4 v[124:127], v128, s[12:13]
	global_load_dwordx4 v[132:135], v129, s[12:13]
	global_load_dwordx4 v[136:139], v128, s[12:13] offset:16
	global_load_dwordx4 v[140:143], v129, s[12:13] offset:16
	;; [unrolled: 1-line block ×6, first 2 shown]
	ds_read2_b64 v[156:159], v202 offset0:110 offset1:235
	ds_read2_b64 v[170:173], v194 offset0:92 offset1:217
	v_lshlrev_b32_sdwa v199, v201, v166 dst_sel:DWORD dst_unused:UNUSED_PAD src0_sel:DWORD src1_sel:BYTE_0
	ds_read2_b64 v[176:179], v185 offset0:74 offset1:199
	ds_read2_b64 v[214:217], v184 offset0:56 offset1:181
	;; [unrolled: 1-line block ×3, first 2 shown]
	v_mul_u32_u24_e32 v168, 0x78, v168
	v_lshlrev_b32_sdwa v169, v201, v169 dst_sel:DWORD dst_unused:UNUSED_PAD src0_sel:DWORD src1_sel:WORD_0
	v_add3_u32 v213, 0, v175, v198
	v_add3_u32 v212, 0, v174, v199
	ds_read2_b64 v[222:225], v190 offset0:86 offset1:211
	ds_read2_b64 v[226:229], v189 offset0:68 offset1:193
	;; [unrolled: 1-line block ×5, first 2 shown]
	v_add3_u32 v211, 0, v168, v169
	v_mov_b32_e32 v197, v242
	ds_read2_b64 v[242:245], v242 offset0:62 offset1:187
	s_mov_b32 s6, 0x134454ff
	s_mov_b32 s7, 0xbfee6f0e
	;; [unrolled: 1-line block ×10, first 2 shown]
	v_cmp_gt_u32_e64 s0, 0x4b, v180
	s_mov_b32 s21, 0xbfd3c6ef
	s_mov_b32 s20, s4
	;; [unrolled: 1-line block ×6, first 2 shown]
	s_waitcnt vmcnt(23) lgkmcnt(10)
	v_mul_f64 v[164:165], v[156:157], v[62:63]
	v_mul_f64 v[62:63], v[52:53], v[62:63]
	s_waitcnt vmcnt(22)
	v_mul_f64 v[166:167], v[158:159], v[74:75]
	v_mul_f64 v[74:75], v[54:55], v[74:75]
	s_waitcnt vmcnt(21)
	v_mul_f64 v[246:247], v[56:57], v[70:71]
	s_waitcnt vmcnt(20) lgkmcnt(9)
	v_mul_f64 v[248:249], v[172:173], v[66:67]
	v_mul_f64 v[250:251], v[58:59], v[66:67]
	;; [unrolled: 1-line block ×3, first 2 shown]
	s_waitcnt vmcnt(19) lgkmcnt(8)
	v_mul_f64 v[252:253], v[176:177], v[86:87]
	v_mul_f64 v[86:87], v[48:49], v[86:87]
	v_fma_f64 v[254:255], v[52:53], v[60:61], v[164:165]
	v_fma_f64 v[198:199], v[156:157], v[60:61], -v[62:63]
	v_fma_f64 v[168:169], v[54:55], v[72:73], v[166:167]
	s_waitcnt vmcnt(17)
	v_mul_f64 v[156:157], v[178:179], v[90:91]
	v_fma_f64 v[164:165], v[158:159], v[72:73], -v[74:75]
	v_mul_f64 v[74:75], v[50:51], v[90:91]
	v_fma_f64 v[246:247], v[170:171], v[68:69], -v[246:247]
	v_fma_f64 v[170:171], v[58:59], v[64:65], v[248:249]
	v_fma_f64 v[166:167], v[172:173], v[64:65], -v[250:251]
	s_waitcnt vmcnt(16) lgkmcnt(7)
	v_mul_f64 v[64:65], v[216:217], v[78:79]
	v_mul_f64 v[90:91], v[214:215], v[82:83]
	;; [unrolled: 1-line block ×4, first 2 shown]
	s_waitcnt vmcnt(15) lgkmcnt(6)
	v_mul_f64 v[82:83], v[218:219], v[98:99]
	v_fma_f64 v[48:49], v[48:49], v[84:85], v[252:253]
	v_fma_f64 v[248:249], v[176:177], v[84:85], -v[86:87]
	v_mul_f64 v[84:85], v[40:41], v[98:99]
	s_waitcnt vmcnt(14)
	v_mul_f64 v[86:87], v[220:221], v[94:95]
	s_waitcnt vmcnt(12)
	v_mul_f64 v[98:99], v[38:39], v[114:115]
	ds_read2_b64 v[52:55], v195 offset0:44 offset1:169
	v_fma_f64 v[56:57], v[56:57], v[68:69], v[174:175]
	ds_read2_b64 v[70:73], v186 offset1:125
	ds_read2_b64 v[66:69], v183 offset0:122 offset1:247
	ds_read2_b64 v[60:63], v191 offset0:116 offset1:241
	s_waitcnt vmcnt(3) lgkmcnt(4)
	v_mul_f64 v[250:251], v[242:243], v[146:147]
	v_fma_f64 v[176:177], v[50:51], v[88:89], v[156:157]
	v_mul_f64 v[50:51], v[42:43], v[94:95]
	v_mul_f64 v[94:95], v[222:223], v[102:103]
	v_fma_f64 v[172:173], v[178:179], v[88:89], -v[74:75]
	v_mul_f64 v[74:75], v[36:37], v[102:103]
	v_mul_f64 v[88:89], v[224:225], v[114:115]
	;; [unrolled: 1-line block ×3, first 2 shown]
	v_fma_f64 v[178:179], v[46:47], v[76:77], v[64:65]
	v_mul_f64 v[64:65], v[230:231], v[110:111]
	v_fma_f64 v[44:45], v[44:45], v[80:81], v[90:91]
	v_fma_f64 v[58:59], v[214:215], v[80:81], -v[58:59]
	v_mul_f64 v[80:81], v[24:25], v[106:107]
	v_fma_f64 v[158:159], v[216:217], v[76:77], -v[78:79]
	v_mul_f64 v[114:115], v[232:233], v[118:119]
	v_mul_f64 v[214:215], v[18:19], v[118:119]
	;; [unrolled: 1-line block ×3, first 2 shown]
	v_fma_f64 v[174:175], v[40:41], v[96:97], v[82:83]
	v_fma_f64 v[156:157], v[218:219], v[96:97], -v[84:85]
	v_mul_f64 v[40:41], v[32:33], v[126:127]
	v_mul_f64 v[82:83], v[236:237], v[134:135]
	v_fma_f64 v[118:119], v[42:43], v[92:93], v[86:87]
	v_mul_f64 v[42:43], v[34:35], v[134:135]
	v_mul_f64 v[218:219], v[238:239], v[138:139]
	v_fma_f64 v[84:85], v[220:221], v[92:93], -v[50:51]
	v_mul_f64 v[50:51], v[28:29], v[138:139]
	v_fma_f64 v[134:135], v[36:37], v[100:101], v[94:95]
	v_fma_f64 v[126:127], v[222:223], v[100:101], -v[74:75]
	v_mul_f64 v[36:37], v[12:13], v[146:147]
	s_waitcnt vmcnt(2)
	v_mul_f64 v[146:147], v[244:245], v[150:151]
	v_fma_f64 v[100:101], v[38:39], v[112:113], v[88:89]
	v_mul_f64 v[38:39], v[14:15], v[150:151]
	s_waitcnt vmcnt(1) lgkmcnt(3)
	v_mul_f64 v[150:151], v[52:53], v[154:155]
	v_fma_f64 v[90:91], v[224:225], v[112:113], -v[98:99]
	v_mul_f64 v[98:99], v[20:21], v[154:155]
	s_waitcnt vmcnt(0)
	v_mul_f64 v[154:155], v[54:55], v[130:131]
	v_mul_f64 v[222:223], v[22:23], v[130:131]
	v_fma_f64 v[138:139], v[24:25], v[104:105], v[102:103]
	v_fma_f64 v[130:131], v[16:17], v[108:109], v[64:65]
	v_mul_f64 v[106:107], v[228:229], v[122:123]
	v_mul_f64 v[76:77], v[16:17], v[110:111]
	;; [unrolled: 1-line block ×4, first 2 shown]
	v_fma_f64 v[110:111], v[226:227], v[104:105], -v[80:81]
	v_fma_f64 v[122:123], v[18:19], v[116:117], v[114:115]
	v_fma_f64 v[64:65], v[232:233], v[116:117], -v[214:215]
	v_fma_f64 v[112:113], v[28:29], v[136:137], v[218:219]
	v_add_f64 v[16:17], v[56:57], v[48:49]
	v_add_f64 v[18:19], v[254:255], v[44:45]
	v_fma_f64 v[116:117], v[12:13], v[144:145], v[250:251]
	v_add_f64 v[24:25], v[170:171], v[176:177]
	v_mul_f64 v[142:143], v[30:31], v[142:143]
	v_fma_f64 v[96:97], v[34:35], v[132:133], v[82:83]
	v_fma_f64 v[94:95], v[238:239], v[136:137], -v[50:51]
	v_fma_f64 v[82:83], v[242:243], v[144:145], -v[36:37]
	v_fma_f64 v[104:105], v[14:15], v[148:149], v[146:147]
	v_add_f64 v[14:15], v[8:9], v[254:255]
	v_fma_f64 v[114:115], v[22:23], v[128:129], v[154:155]
	v_add_f64 v[22:23], v[246:247], -v[248:249]
	v_add_f64 v[12:13], v[134:135], v[138:139]
	v_add_f64 v[28:29], v[174:175], v[130:131]
	v_fma_f64 v[106:107], v[26:27], v[120:121], v[106:107]
	v_add_f64 v[26:27], v[168:169], v[178:179]
	v_fma_f64 v[74:75], v[230:231], v[108:109], -v[76:77]
	v_fma_f64 v[78:79], v[228:229], v[120:121], -v[46:47]
	v_fma_f64 v[108:109], v[32:33], v[124:125], v[216:217]
	v_fma_f64 v[102:103], v[30:31], v[140:141], v[220:221]
	v_fma_f64 v[120:121], v[20:21], v[152:153], v[150:151]
	v_add_f64 v[20:21], v[198:199], -v[58:59]
	v_add_f64 v[30:31], v[254:255], -v[56:57]
	;; [unrolled: 1-line block ×3, first 2 shown]
	v_add_f64 v[36:37], v[4:5], v[174:175]
	v_fma_f64 v[16:17], v[16:17], -0.5, v[8:9]
	v_fma_f64 v[8:9], v[18:19], -0.5, v[8:9]
	v_add_f64 v[46:47], v[168:169], -v[170:171]
	v_add_f64 v[50:51], v[178:179], -v[176:177]
	;; [unrolled: 1-line block ×3, first 2 shown]
	v_add_f64 v[34:35], v[10:11], v[168:169]
	v_add_f64 v[18:19], v[164:165], -v[158:159]
	v_fma_f64 v[24:25], v[24:25], -0.5, v[10:11]
	v_fma_f64 v[80:81], v[244:245], v[148:149], -v[38:39]
	v_fma_f64 v[12:13], v[12:13], -0.5, v[4:5]
	v_fma_f64 v[4:5], v[28:29], -0.5, v[4:5]
	v_add_f64 v[38:39], v[166:167], -v[172:173]
	v_fma_f64 v[10:11], v[26:27], -0.5, v[10:11]
	v_fma_f64 v[92:93], v[234:235], v[124:125], -v[40:41]
	v_add_f64 v[40:41], v[156:157], -v[74:75]
	v_fma_f64 v[86:87], v[236:237], v[132:133], -v[42:43]
	v_fma_f64 v[88:89], v[240:241], v[140:141], -v[142:143]
	;; [unrolled: 1-line block ×3, first 2 shown]
	v_add_f64 v[26:27], v[56:57], -v[254:255]
	v_add_f64 v[42:43], v[48:49], -v[44:45]
	;; [unrolled: 1-line block ×7, first 2 shown]
	v_add_f64 v[14:15], v[14:15], v[56:57]
	v_fma_f64 v[140:141], v[20:21], s[6:7], v[16:17]
	v_fma_f64 v[142:143], v[22:23], s[16:17], v[8:9]
	;; [unrolled: 1-line block ×4, first 2 shown]
	v_add_f64 v[150:151], v[138:139], -v[130:131]
	v_add_f64 v[30:31], v[30:31], v[32:33]
	v_add_f64 v[32:33], v[46:47], v[50:51]
	v_fma_f64 v[50:51], v[136:137], s[16:17], v[4:5]
	v_fma_f64 v[4:5], v[136:137], s[6:7], v[4:5]
	v_add_f64 v[34:35], v[34:35], v[170:171]
	v_fma_f64 v[144:145], v[18:19], s[6:7], v[24:25]
	v_fma_f64 v[146:147], v[38:39], s[16:17], v[10:11]
	v_fma_f64 v[10:11], v[38:39], s[6:7], v[10:11]
	v_fma_f64 v[24:25], v[18:19], s[16:17], v[24:25]
	v_add_f64 v[36:37], v[36:37], v[134:135]
	v_fma_f64 v[148:149], v[40:41], s[6:7], v[12:13]
	v_add_f64 v[152:153], v[100:101], v[106:107]
	v_add_f64 v[26:27], v[26:27], v[42:43]
	;; [unrolled: 1-line block ×4, first 2 shown]
	v_fma_f64 v[98:99], v[54:55], v[128:129], -v[222:223]
	v_add_f64 v[14:15], v[14:15], v[48:49]
	v_fma_f64 v[52:53], v[22:23], s[14:15], v[140:141]
	v_fma_f64 v[124:125], v[20:21], s[14:15], v[142:143]
	;; [unrolled: 1-line block ×4, first 2 shown]
	v_add_f64 v[128:129], v[112:113], v[116:117]
	v_add_f64 v[28:29], v[28:29], v[150:151]
	;; [unrolled: 1-line block ×3, first 2 shown]
	v_fma_f64 v[50:51], v[40:41], s[14:15], v[50:51]
	v_fma_f64 v[4:5], v[40:41], s[8:9], v[4:5]
	v_add_f64 v[34:35], v[34:35], v[176:177]
	v_fma_f64 v[20:21], v[38:39], s[14:15], v[144:145]
	v_fma_f64 v[22:23], v[18:19], s[14:15], v[146:147]
	v_fma_f64 v[10:11], v[18:19], s[8:9], v[10:11]
	v_fma_f64 v[18:19], v[38:39], s[8:9], v[24:25]
	v_add_f64 v[36:37], v[36:37], v[138:139]
	v_fma_f64 v[24:25], v[136:137], s[14:15], v[148:149]
	v_add_f64 v[132:133], v[108:109], v[120:121]
	v_add_f64 v[38:39], v[84:85], -v[64:65]
	v_fma_f64 v[140:141], v[152:153], -0.5, v[6:7]
	v_add_f64 v[144:145], v[102:103], v[104:105]
	v_add_f64 v[146:147], v[92:93], -v[76:77]
	v_add_f64 v[14:15], v[14:15], v[44:45]
	v_fma_f64 v[52:53], v[30:31], s[4:5], v[52:53]
	v_fma_f64 v[124:125], v[26:27], s[4:5], v[124:125]
	;; [unrolled: 1-line block ×4, first 2 shown]
	v_add_f64 v[26:27], v[118:119], -v[100:101]
	v_add_f64 v[30:31], v[122:123], -v[106:107]
	v_add_f64 v[148:149], v[96:97], v[114:115]
	v_fma_f64 v[12:13], v[40:41], s[16:17], v[12:13]
	v_fma_f64 v[40:41], v[28:29], s[4:5], v[50:51]
	;; [unrolled: 1-line block ×3, first 2 shown]
	v_fma_f64 v[50:51], v[128:129], -0.5, v[0:1]
	v_add_f64 v[34:35], v[34:35], v[178:179]
	v_fma_f64 v[20:21], v[32:33], s[4:5], v[20:21]
	v_fma_f64 v[22:23], v[42:43], s[4:5], v[22:23]
	v_fma_f64 v[10:11], v[42:43], s[4:5], v[10:11]
	v_fma_f64 v[18:19], v[32:33], s[4:5], v[18:19]
	v_add_f64 v[36:37], v[36:37], v[130:131]
	v_fma_f64 v[24:25], v[46:47], s[4:5], v[24:25]
	v_add_f64 v[54:55], v[90:91], -v[78:79]
	v_fma_f64 v[142:143], v[154:155], -0.5, v[6:7]
	v_add_f64 v[32:33], v[100:101], -v[118:119]
	v_add_f64 v[42:43], v[106:107], -v[122:123]
	;; [unrolled: 1-line block ×3, first 2 shown]
	v_fma_f64 v[132:133], v[132:133], -0.5, v[0:1]
	v_add_f64 v[6:7], v[6:7], v[118:119]
	s_waitcnt lgkmcnt(0)
	s_barrier
	buffer_gl0_inv
	v_fma_f64 v[128:129], v[38:39], s[6:7], v[140:141]
	ds_write2_b64 v213, v[14:15], v[52:53] offset1:3
	ds_write2_b64 v213, v[124:125], v[8:9] offset0:6 offset1:9
	ds_write_b64 v213, v[16:17] offset:96
	ds_write2_b64 v212, v[34:35], v[20:21] offset1:3
	ds_write2_b64 v212, v[22:23], v[10:11] offset0:6 offset1:9
	ds_write_b64 v212, v[18:19] offset:96
	ds_write2_b64 v211, v[36:37], v[24:25] offset1:3
	v_fma_f64 v[10:11], v[38:39], s[16:17], v[140:141]
	v_add_f64 v[14:15], v[26:27], v[30:31]
	v_fma_f64 v[16:17], v[144:145], -0.5, v[2:3]
	v_add_f64 v[18:19], v[86:87], -v[98:99]
	v_fma_f64 v[20:21], v[148:149], -0.5, v[2:3]
	v_add_f64 v[22:23], v[88:89], -v[80:81]
	ds_write2_b64 v211, v[40:41], v[4:5] offset0:6 offset1:9
	v_add_f64 v[0:1], v[0:1], v[108:109]
	v_add_f64 v[26:27], v[108:109], -v[112:113]
	v_add_f64 v[30:31], v[120:121], -v[116:117]
	;; [unrolled: 1-line block ×4, first 2 shown]
	v_fma_f64 v[40:41], v[146:147], s[6:7], v[50:51]
	v_fma_f64 v[50:51], v[146:147], s[16:17], v[50:51]
	v_add_f64 v[2:3], v[2:3], v[96:97]
	v_fma_f64 v[150:151], v[54:55], s[16:17], v[142:143]
	v_fma_f64 v[8:9], v[54:55], s[6:7], v[142:143]
	v_add_f64 v[24:25], v[32:33], v[42:43]
	;; [unrolled: 3-line block ×3, first 2 shown]
	v_add_f64 v[32:33], v[246:247], v[248:249]
	v_fma_f64 v[12:13], v[136:137], s[8:9], v[12:13]
	v_fma_f64 v[4:5], v[54:55], s[14:15], v[128:129]
	v_add_f64 v[124:125], v[96:97], -v[102:103]
	v_add_f64 v[128:129], v[114:115], -v[104:105]
	v_add_f64 v[132:133], v[102:103], -v[96:97]
	v_add_f64 v[136:137], v[104:105], -v[114:115]
	v_fma_f64 v[140:141], v[18:19], s[6:7], v[16:17]
	v_fma_f64 v[142:143], v[22:23], s[16:17], v[20:21]
	;; [unrolled: 1-line block ×4, first 2 shown]
	v_add_f64 v[0:1], v[0:1], v[112:113]
	v_fma_f64 v[10:11], v[54:55], s[8:9], v[10:11]
	v_add_f64 v[26:27], v[26:27], v[30:31]
	v_add_f64 v[30:31], v[34:35], v[36:37]
	v_fma_f64 v[34:35], v[28:29], s[14:15], v[40:41]
	v_fma_f64 v[28:29], v[28:29], s[8:9], v[50:51]
	v_add_f64 v[50:51], v[198:199], v[58:59]
	v_add_f64 v[2:3], v[2:3], v[102:103]
	v_fma_f64 v[144:145], v[38:39], s[14:15], v[150:151]
	v_fma_f64 v[8:9], v[38:39], s[8:9], v[8:9]
	v_add_f64 v[38:39], v[254:255], -v[44:45]
	v_add_f64 v[44:45], v[70:71], v[198:199]
	v_fma_f64 v[36:37], v[146:147], s[14:15], v[42:43]
	v_fma_f64 v[40:41], v[146:147], s[8:9], v[52:53]
	v_add_f64 v[6:7], v[6:7], v[106:107]
	v_fma_f64 v[32:33], v[32:33], -0.5, v[70:71]
	v_add_f64 v[42:43], v[124:125], v[128:129]
	v_add_f64 v[52:53], v[132:133], v[136:137]
	v_fma_f64 v[54:55], v[22:23], s[14:15], v[140:141]
	v_fma_f64 v[124:125], v[18:19], s[14:15], v[142:143]
	;; [unrolled: 1-line block ×4, first 2 shown]
	v_add_f64 v[0:1], v[0:1], v[116:117]
	v_add_f64 v[48:49], v[56:57], -v[48:49]
	v_fma_f64 v[12:13], v[46:47], s[4:5], v[12:13]
	v_fma_f64 v[4:5], v[14:15], s[4:5], v[4:5]
	;; [unrolled: 1-line block ×4, first 2 shown]
	v_fma_f64 v[34:35], v[50:51], -0.5, v[70:71]
	v_add_f64 v[2:3], v[2:3], v[104:105]
	v_add_f64 v[20:21], v[198:199], -v[246:247]
	v_add_f64 v[22:23], v[58:59], -v[248:249]
	v_fma_f64 v[46:47], v[24:25], s[4:5], v[144:145]
	v_add_f64 v[44:45], v[44:45], v[246:247]
	v_fma_f64 v[8:9], v[24:25], s[4:5], v[8:9]
	v_fma_f64 v[24:25], v[30:31], s[4:5], v[36:37]
	;; [unrolled: 1-line block ×3, first 2 shown]
	v_mul_u32_u24_e32 v40, 0x78, v205
	v_lshlrev_b32_sdwa v41, v201, v206 dst_sel:DWORD dst_unused:UNUSED_PAD src0_sel:DWORD src1_sel:WORD_0
	v_add_f64 v[6:7], v[6:7], v[122:123]
	v_fma_f64 v[56:57], v[38:39], s[16:17], v[32:33]
	v_fma_f64 v[26:27], v[26:27], s[4:5], v[28:29]
	;; [unrolled: 1-line block ×6, first 2 shown]
	v_add_f64 v[0:1], v[0:1], v[120:121]
	v_add3_u32 v205, 0, v40, v41
	ds_write_b64 v211, v[12:13] offset:96
	v_add_f64 v[12:13], v[246:247], -v[198:199]
	v_add_f64 v[40:41], v[248:249], -v[58:59]
	v_fma_f64 v[42:43], v[48:49], s[6:7], v[34:35]
	v_fma_f64 v[34:35], v[48:49], s[16:17], v[34:35]
	v_add_f64 v[2:3], v[2:3], v[114:115]
	v_add_f64 v[70:71], v[20:21], v[22:23]
	;; [unrolled: 1-line block ×3, first 2 shown]
	v_mul_u32_u24_e32 v44, 0x78, v208
	v_lshlrev_b32_sdwa v45, v201, v209 dst_sel:DWORD dst_unused:UNUSED_PAD src0_sel:DWORD src1_sel:WORD_0
	v_mul_u32_u24_e32 v50, 0x78, v207
	v_lshlrev_b32_sdwa v51, v201, v210 dst_sel:DWORD dst_unused:UNUSED_PAD src0_sel:DWORD src1_sel:WORD_0
	ds_write2_b64 v205, v[6:7], v[4:5] offset1:3
	ds_write2_b64 v205, v[46:47], v[8:9] offset0:6 offset1:9
	v_add3_u32 v198, 0, v44, v45
	v_fma_f64 v[4:5], v[38:39], s[6:7], v[32:33]
	v_add3_u32 v199, 0, v50, v51
	v_fma_f64 v[22:23], v[48:49], s[8:9], v[56:57]
	ds_write_b64 v205, v[10:11] offset:96
	ds_write2_b64 v198, v[0:1], v[14:15] offset1:3
	v_add_f64 v[0:1], v[72:73], v[164:165]
	v_add_f64 v[6:7], v[166:167], v[172:173]
	;; [unrolled: 1-line block ×3, first 2 shown]
	ds_write2_b64 v198, v[24:25], v[30:31] offset0:6 offset1:9
	ds_write_b64 v198, v[26:27] offset:96
	ds_write2_b64 v199, v[2:3], v[28:29] offset1:3
	ds_write2_b64 v199, v[36:37], v[18:19] offset0:6 offset1:9
	ds_write_b64 v199, v[16:17] offset:96
	v_add_f64 v[12:13], v[12:13], v[40:41]
	v_fma_f64 v[16:17], v[38:39], s[8:9], v[42:43]
	v_fma_f64 v[18:19], v[38:39], s[14:15], v[34:35]
	v_add_f64 v[124:125], v[20:21], v[58:59]
	v_add_f64 v[142:143], v[156:157], v[74:75]
	v_add_f64 v[144:145], v[168:169], -v[178:179]
	v_add_f64 v[146:147], v[170:171], -v[176:177]
	v_add_f64 v[148:149], v[126:127], v[110:111]
	v_add_f64 v[168:169], v[66:67], v[156:157]
	s_waitcnt lgkmcnt(0)
	v_fma_f64 v[132:133], v[48:49], s[14:15], v[4:5]
	s_barrier
	v_fma_f64 v[128:129], v[70:71], s[4:5], v[22:23]
	buffer_gl0_inv
	ds_read2_b64 v[8:11], v186 offset1:125
	ds_read2_b64 v[56:59], v202 offset0:110 offset1:235
	v_add_f64 v[136:137], v[0:1], v[166:167]
	v_fma_f64 v[140:141], v[6:7], -0.5, v[72:73]
	v_fma_f64 v[72:73], v[14:15], -0.5, v[72:73]
	ds_read2_b64 v[52:55], v194 offset0:92 offset1:217
	ds_read2_b64 v[48:51], v185 offset0:74 offset1:199
	;; [unrolled: 1-line block ×9, first 2 shown]
	v_add_f64 v[154:155], v[158:159], -v[172:173]
	v_fma_f64 v[150:151], v[12:13], s[4:5], v[16:17]
	v_fma_f64 v[152:153], v[12:13], s[4:5], v[18:19]
	ds_read2_b64 v[24:27], v192 offset0:98 offset1:223
	ds_read2_b64 v[20:23], v193 offset0:80 offset1:205
	;; [unrolled: 1-line block ×4, first 2 shown]
	s_waitcnt lgkmcnt(0)
	v_add_f64 v[134:135], v[134:135], -v[138:139]
	v_fma_f64 v[138:139], v[142:143], -0.5, v[66:67]
	s_barrier
	v_add_f64 v[130:131], v[174:175], -v[130:131]
	v_fma_f64 v[70:71], v[70:71], s[4:5], v[132:133]
	v_add_f64 v[132:133], v[164:165], -v[166:167]
	v_add_f64 v[164:165], v[166:167], -v[164:165]
	;; [unrolled: 1-line block ×3, first 2 shown]
	v_fma_f64 v[66:67], v[148:149], -0.5, v[66:67]
	v_add_f64 v[136:137], v[136:137], v[172:173]
	buffer_gl0_inv
	v_fma_f64 v[170:171], v[146:147], s[6:7], v[72:73]
	ds_write2_b64 v213, v[124:125], v[128:129] offset1:3
	ds_write2_b64 v213, v[150:151], v[152:153] offset0:6 offset1:9
	v_add_f64 v[124:125], v[90:91], v[78:79]
	v_fma_f64 v[72:73], v[146:147], s[16:17], v[72:73]
	v_fma_f64 v[128:129], v[144:145], s[6:7], v[140:141]
	;; [unrolled: 1-line block ×3, first 2 shown]
	v_add_f64 v[140:141], v[74:75], -v[110:111]
	v_add_f64 v[150:151], v[168:169], v[126:127]
	v_add_f64 v[152:153], v[84:85], v[64:65]
	v_add_f64 v[118:119], v[118:119], -v[122:123]
	ds_write_b64 v213, v[70:71] offset:96
	v_add_f64 v[70:71], v[156:157], -v[126:127]
	v_add_f64 v[132:133], v[132:133], v[154:155]
	v_add_f64 v[148:149], v[164:165], v[166:167]
	;; [unrolled: 1-line block ×4, first 2 shown]
	v_add_f64 v[126:127], v[126:127], -v[156:157]
	v_add_f64 v[154:155], v[110:111], -v[74:75]
	v_fma_f64 v[156:157], v[134:135], s[6:7], v[138:139]
	v_fma_f64 v[158:159], v[144:145], s[8:9], v[170:171]
	;; [unrolled: 1-line block ×5, first 2 shown]
	v_add_f64 v[168:169], v[92:93], v[76:77]
	v_fma_f64 v[122:123], v[124:125], -0.5, v[68:69]
	v_fma_f64 v[72:73], v[144:145], s[14:15], v[72:73]
	v_fma_f64 v[124:125], v[146:147], s[14:15], v[128:129]
	v_add_f64 v[128:129], v[88:89], v[80:81]
	v_add_f64 v[144:145], v[86:87], v[98:99]
	v_fma_f64 v[142:143], v[146:147], s[8:9], v[142:143]
	v_add_f64 v[146:147], v[84:85], -v[90:91]
	v_add_f64 v[170:171], v[64:65], -v[78:79]
	v_add_f64 v[110:111], v[150:151], v[110:111]
	v_add_f64 v[70:71], v[70:71], v[140:141]
	;; [unrolled: 1-line block ×3, first 2 shown]
	v_fma_f64 v[68:69], v[152:153], -0.5, v[68:69]
	v_add_f64 v[100:101], v[100:101], -v[106:107]
	v_add_f64 v[150:151], v[60:61], v[92:93]
	v_add_f64 v[108:109], v[108:109], -v[120:121]
	v_fma_f64 v[120:121], v[164:165], -0.5, v[60:61]
	v_add_f64 v[106:107], v[126:127], v[154:155]
	v_fma_f64 v[126:127], v[130:131], s[8:9], v[156:157]
	v_fma_f64 v[130:131], v[130:131], s[14:15], v[138:139]
	;; [unrolled: 1-line block ×4, first 2 shown]
	v_add_f64 v[134:135], v[62:63], v[86:87]
	v_add_f64 v[102:103], v[102:103], -v[104:105]
	v_add_f64 v[96:97], v[96:97], -v[114:115]
	;; [unrolled: 1-line block ×3, first 2 shown]
	v_fma_f64 v[128:129], v[128:129], -0.5, v[62:63]
	v_fma_f64 v[62:63], v[144:145], -0.5, v[62:63]
	;; [unrolled: 1-line block ×3, first 2 shown]
	v_add_f64 v[84:85], v[90:91], -v[84:85]
	v_add_f64 v[114:115], v[146:147], v[170:171]
	v_add_f64 v[144:145], v[92:93], -v[94:95]
	v_add_f64 v[92:93], v[94:95], -v[92:93]
	v_add_f64 v[104:105], v[140:141], v[90:91]
	v_add_f64 v[90:91], v[78:79], -v[64:65]
	v_fma_f64 v[140:141], v[100:101], s[6:7], v[68:69]
	v_fma_f64 v[68:69], v[100:101], s[16:17], v[68:69]
	v_add_f64 v[146:147], v[150:151], v[94:95]
	v_fma_f64 v[152:153], v[108:109], s[16:17], v[120:121]
	v_fma_f64 v[120:121], v[108:109], s[6:7], v[120:121]
	v_add_f64 v[94:95], v[82:83], -v[76:77]
	v_add_f64 v[156:157], v[86:87], -v[88:89]
	v_add_f64 v[86:87], v[88:89], -v[86:87]
	v_fma_f64 v[116:117], v[118:119], s[16:17], v[122:123]
	v_add_f64 v[134:135], v[134:135], v[88:89]
	v_add_f64 v[88:89], v[80:81], -v[98:99]
	v_fma_f64 v[122:123], v[118:119], s[6:7], v[122:123]
	v_fma_f64 v[72:73], v[148:149], s[4:5], v[72:73]
	;; [unrolled: 1-line block ×8, first 2 shown]
	v_add_f64 v[74:75], v[110:111], v[74:75]
	v_fma_f64 v[110:111], v[70:71], s[4:5], v[138:139]
	v_add_f64 v[84:85], v[84:85], v[90:91]
	v_fma_f64 v[90:91], v[118:119], s[8:9], v[140:141]
	v_fma_f64 v[68:69], v[118:119], s[14:15], v[68:69]
	v_add_f64 v[164:165], v[98:99], -v[80:81]
	v_fma_f64 v[118:119], v[112:113], s[8:9], v[152:153]
	v_fma_f64 v[112:113], v[112:113], s[14:15], v[120:121]
	v_add_f64 v[92:93], v[92:93], v[94:95]
	v_fma_f64 v[94:95], v[132:133], s[4:5], v[142:143]
	v_fma_f64 v[120:121], v[148:149], s[4:5], v[158:159]
	v_mov_b32_e32 v244, v181
	v_add_f64 v[80:81], v[134:135], v[80:81]
	v_add_f64 v[86:87], v[86:87], v[88:89]
	v_add_f64 v[150:151], v[76:77], -v[82:83]
	v_fma_f64 v[116:117], v[100:101], s[8:9], v[116:117]
	v_fma_f64 v[134:135], v[102:103], s[8:9], v[168:169]
	;; [unrolled: 1-line block ×8, first 2 shown]
	v_add_f64 v[78:79], v[104:105], v[78:79]
	v_fma_f64 v[100:101], v[100:101], s[14:15], v[122:123]
	v_add_f64 v[82:83], v[146:147], v[82:83]
	v_fma_f64 v[122:123], v[108:109], s[8:9], v[154:155]
	v_fma_f64 v[60:61], v[108:109], s[14:15], v[60:61]
	v_add_f64 v[108:109], v[156:157], v[164:165]
	v_fma_f64 v[66:67], v[70:71], s[4:5], v[66:67]
	v_fma_f64 v[68:69], v[84:85], s[4:5], v[68:69]
	ds_write2_b64 v212, v[136:137], v[94:95] offset1:3
	ds_write2_b64 v212, v[120:121], v[72:73] offset0:6 offset1:9
	ds_write_b64 v212, v[102:103] offset:96
	ds_write2_b64 v211, v[74:75], v[110:111] offset1:3
	ds_write2_b64 v211, v[124:125], v[106:107] offset0:6 offset1:9
	buffer_load_dword v181, off, s[28:31], 0 ; 4-byte Folded Reload
	v_add_f64 v[104:105], v[144:145], v[150:151]
	v_add_f64 v[64:65], v[78:79], v[64:65]
	v_fma_f64 v[70:71], v[114:115], s[4:5], v[116:117]
	v_fma_f64 v[78:79], v[84:85], s[4:5], v[90:91]
	;; [unrolled: 1-line block ×3, first 2 shown]
	v_add_f64 v[76:77], v[82:83], v[76:77]
	v_fma_f64 v[90:91], v[92:93], s[4:5], v[122:123]
	v_fma_f64 v[60:61], v[92:93], s[4:5], v[60:61]
	v_and_b32_e32 v72, 0xff, v180
	v_add_f64 v[80:81], v[80:81], v[98:99]
	v_fma_f64 v[88:89], v[86:87], s[4:5], v[88:89]
	v_fma_f64 v[98:99], v[108:109], s[4:5], v[134:135]
	;; [unrolled: 1-line block ×3, first 2 shown]
	v_mul_lo_u16 v72, 0x89, v72
	v_fma_f64 v[86:87], v[108:109], s[4:5], v[96:97]
	ds_write_b64 v211, v[66:67] offset:96
	ds_write2_b64 v205, v[64:65], v[70:71] offset1:3
	ds_write2_b64 v205, v[78:79], v[68:69] offset0:6 offset1:9
	v_fma_f64 v[82:83], v[104:105], s[4:5], v[118:119]
	v_fma_f64 v[92:93], v[104:105], s[4:5], v[112:113]
	v_lshrrev_b16 v172, 11, v72
	v_mov_b32_e32 v242, v182
	ds_write_b64 v205, v[84:85] offset:96
	ds_write2_b64 v198, v[76:77], v[82:83] offset1:3
	ds_write2_b64 v198, v[90:91], v[60:61] offset0:6 offset1:9
	v_mul_lo_u16 v64, v172, 15
	ds_write_b64 v198, v[92:93] offset:96
	ds_write2_b64 v199, v[80:81], v[98:99] offset1:3
	ds_write2_b64 v199, v[88:89], v[62:63] offset0:6 offset1:9
	ds_write_b64 v199, v[86:87] offset:96
	s_waitcnt vmcnt(0) lgkmcnt(0)
	v_sub_nc_u16 v173, v180, v64
	s_barrier
	buffer_gl0_inv
	v_mov_b32_e32 v243, v197
	v_mov_b32_e32 v197, v204
	;; [unrolled: 1-line block ×6, first 2 shown]
	v_mul_u32_u24_sdwa v62, v197, v68 dst_sel:DWORD dst_unused:UNUSED_PAD src0_sel:WORD_0 src1_sel:DWORD
	v_mul_u32_u24_sdwa v71, v200, v68 dst_sel:DWORD dst_unused:UNUSED_PAD src0_sel:WORD_0 src1_sel:DWORD
	v_lshrrev_b32_e32 v170, 19, v62
	v_lshrrev_b32_e32 v164, 19, v71
	v_mul_lo_u16 v73, 0x89, v181
	v_lshrrev_b16 v166, 11, v73
	v_mul_lo_u16 v60, v166, 15
	v_sub_nc_u16 v165, v242, v60
	v_lshlrev_b32_sdwa v60, v203, v173 dst_sel:DWORD dst_unused:UNUSED_PAD src0_sel:DWORD src1_sel:BYTE_0
	v_lshlrev_b32_sdwa v61, v203, v165 dst_sel:DWORD dst_unused:UNUSED_PAD src0_sel:DWORD src1_sel:BYTE_0
	s_clause 0x7
	global_load_dwordx4 v[128:131], v60, s[12:13] offset:192
	global_load_dwordx4 v[132:135], v61, s[12:13] offset:192
	;; [unrolled: 1-line block ×8, first 2 shown]
	v_mul_u32_u24_sdwa v60, v196, v68 dst_sel:DWORD dst_unused:UNUSED_PAD src0_sel:WORD_0 src1_sel:DWORD
	v_mul_u32_u24_sdwa v68, v244, v68 dst_sel:DWORD dst_unused:UNUSED_PAD src0_sel:WORD_0 src1_sel:DWORD
	v_lshrrev_b32_e32 v158, 19, v60
	v_mul_lo_u16 v60, v170, 15
	v_lshrrev_b32_e32 v167, 19, v68
	v_mul_lo_u16 v62, v158, 15
	v_sub_nc_u16 v171, v197, v60
	v_mul_lo_u16 v68, v167, 15
	v_sub_nc_u16 v159, v196, v62
	v_lshlrev_b32_sdwa v69, v203, v171 dst_sel:DWORD dst_unused:UNUSED_PAD src0_sel:DWORD src1_sel:WORD_0
	v_sub_nc_u16 v169, v244, v68
	v_lshlrev_b32_sdwa v70, v203, v159 dst_sel:DWORD dst_unused:UNUSED_PAD src0_sel:DWORD src1_sel:WORD_0
	s_clause 0x7
	global_load_dwordx4 v[60:63], v69, s[12:13] offset:192
	global_load_dwordx4 v[64:67], v70, s[12:13] offset:192
	;; [unrolled: 1-line block ×8, first 2 shown]
	v_mul_lo_u16 v69, v164, 15
	v_lshlrev_b32_sdwa v68, v203, v169 dst_sel:DWORD dst_unused:UNUSED_PAD src0_sel:DWORD src1_sel:WORD_0
	v_sub_nc_u16 v168, v200, v69
	v_lshlrev_b32_sdwa v69, v203, v168 dst_sel:DWORD dst_unused:UNUSED_PAD src0_sel:DWORD src1_sel:WORD_0
	s_clause 0x7
	global_load_dwordx4 v[108:111], v69, s[12:13] offset:192
	global_load_dwordx4 v[112:115], v68, s[12:13] offset:192
	;; [unrolled: 1-line block ×8, first 2 shown]
	ds_read2_b64 v[203:206], v202 offset0:110 offset1:235
	ds_read2_b64 v[207:210], v251 offset0:92 offset1:217
	;; [unrolled: 1-line block ×5, first 2 shown]
	s_waitcnt vmcnt(23) lgkmcnt(4)
	v_mul_f64 v[136:137], v[203:204], v[130:131]
	v_mul_f64 v[130:131], v[56:57], v[130:131]
	s_waitcnt vmcnt(22)
	v_mul_f64 v[138:139], v[205:206], v[134:135]
	s_waitcnt vmcnt(21) lgkmcnt(3)
	v_mul_f64 v[198:199], v[207:208], v[144:145]
	s_waitcnt vmcnt(20) lgkmcnt(2)
	v_mul_f64 v[223:224], v[211:212], v[148:149]
	v_mul_f64 v[134:135], v[58:59], v[134:135]
	;; [unrolled: 1-line block ×3, first 2 shown]
	s_waitcnt vmcnt(19)
	v_mul_f64 v[227:228], v[209:210], v[152:153]
	s_waitcnt vmcnt(18) lgkmcnt(1)
	v_mul_f64 v[229:230], v[215:216], v[156:157]
	s_waitcnt vmcnt(17)
	v_mul_f64 v[231:232], v[213:214], v[176:177]
	v_mul_f64 v[152:153], v[54:55], v[152:153]
	;; [unrolled: 1-line block ×4, first 2 shown]
	ds_read2_b64 v[176:179], v190 offset0:86 offset1:211
	v_fma_f64 v[140:141], v[56:57], v[128:129], v[136:137]
	v_fma_f64 v[56:57], v[203:204], v[128:129], -v[130:131]
	v_fma_f64 v[130:131], v[58:59], v[132:133], v[138:139]
	v_mul_f64 v[58:59], v[44:45], v[156:157]
	v_fma_f64 v[136:137], v[52:53], v[142:143], v[198:199]
	v_fma_f64 v[138:139], v[48:49], v[146:147], v[223:224]
	s_waitcnt vmcnt(16)
	v_mul_f64 v[48:49], v[217:218], v[74:75]
	ds_read2_b64 v[223:226], v189 offset0:68 offset1:193
	v_mul_f64 v[156:157], v[46:47], v[74:75]
	v_fma_f64 v[74:75], v[205:206], v[132:133], -v[134:135]
	v_fma_f64 v[134:135], v[207:208], v[142:143], -v[144:145]
	s_waitcnt vmcnt(15) lgkmcnt(2)
	v_mul_f64 v[144:145], v[219:220], v[62:63]
	v_fma_f64 v[142:143], v[44:45], v[154:155], v[229:230]
	v_fma_f64 v[52:53], v[54:55], v[150:151], v[227:228]
	v_mul_f64 v[44:45], v[32:33], v[62:63]
	v_fma_f64 v[54:55], v[50:51], v[174:175], v[231:232]
	s_waitcnt vmcnt(14)
	v_mul_f64 v[50:51], v[34:35], v[66:67]
	v_fma_f64 v[128:129], v[209:210], v[150:151], -v[152:153]
	v_mul_f64 v[150:151], v[221:222], v[66:67]
	ds_read2_b64 v[203:206], v187 offset0:50 offset1:175
	v_fma_f64 v[132:133], v[213:214], v[174:175], -v[233:234]
	s_waitcnt vmcnt(13) lgkmcnt(2)
	v_mul_f64 v[174:175], v[176:177], v[86:87]
	s_waitcnt vmcnt(12)
	v_mul_f64 v[207:208], v[178:179], v[94:95]
	v_fma_f64 v[62:63], v[211:212], v[146:147], -v[148:149]
	v_mul_f64 v[198:199], v[28:29], v[86:87]
	v_fma_f64 v[58:59], v[215:216], v[154:155], -v[58:59]
	v_mul_f64 v[94:95], v[30:31], v[94:95]
	s_waitcnt vmcnt(11) lgkmcnt(1)
	v_mul_f64 v[209:210], v[223:224], v[82:83]
	v_fma_f64 v[66:67], v[46:47], v[72:73], v[48:49]
	v_add_f64 v[48:49], v[136:137], v[138:139]
	v_fma_f64 v[146:147], v[217:218], v[72:73], -v[156:157]
	v_mul_f64 v[72:73], v[40:41], v[82:83]
	s_waitcnt vmcnt(10)
	v_mul_f64 v[82:83], v[225:226], v[90:91]
	v_fma_f64 v[152:153], v[32:33], v[60:61], v[144:145]
	v_add_f64 v[32:33], v[140:141], v[142:143]
	v_mul_f64 v[211:212], v[42:43], v[90:91]
	v_fma_f64 v[148:149], v[219:220], v[60:61], -v[44:45]
	ds_read2_b64 v[44:47], v192 offset0:98 offset1:223
	v_fma_f64 v[86:87], v[221:222], v[64:65], -v[50:51]
	s_waitcnt vmcnt(9) lgkmcnt(1)
	v_mul_f64 v[60:61], v[203:204], v[98:99]
	v_mul_f64 v[98:99], v[36:37], v[98:99]
	s_waitcnt vmcnt(8)
	v_mul_f64 v[50:51], v[38:39], v[118:119]
	v_fma_f64 v[144:145], v[34:35], v[64:65], v[150:151]
	v_mul_f64 v[213:214], v[205:206], v[118:119]
	v_fma_f64 v[154:155], v[28:29], v[84:85], v[174:175]
	v_fma_f64 v[90:91], v[30:31], v[92:93], v[207:208]
	ds_read2_b64 v[28:31], v193 offset0:80 offset1:205
	v_add_f64 v[64:65], v[56:57], -v[58:59]
	v_fma_f64 v[150:151], v[176:177], v[84:85], -v[198:199]
	v_fma_f64 v[156:157], v[40:41], v[80:81], v[209:210]
	v_add_f64 v[40:41], v[8:9], v[140:141]
	v_fma_f64 v[48:49], v[48:49], -0.5, v[8:9]
	v_fma_f64 v[84:85], v[178:179], v[92:93], -v[94:95]
	v_fma_f64 v[92:93], v[223:224], v[80:81], -v[72:73]
	v_fma_f64 v[94:95], v[42:43], v[88:89], v[82:83]
	v_add_f64 v[42:43], v[134:135], -v[62:63]
	v_fma_f64 v[174:175], v[32:33], -0.5, v[8:9]
	v_fma_f64 v[82:83], v[225:226], v[88:89], -v[211:212]
	s_waitcnt vmcnt(7) lgkmcnt(1)
	v_mul_f64 v[88:89], v[44:45], v[110:111]
	ds_read2_b64 v[32:35], v243 offset0:62 offset1:187
	v_add_f64 v[176:177], v[140:141], -v[136:137]
	v_fma_f64 v[8:9], v[36:37], v[96:97], v[60:61]
	v_mul_f64 v[60:61], v[24:25], v[110:111]
	v_fma_f64 v[80:81], v[203:204], v[96:97], -v[98:99]
	s_waitcnt vmcnt(6)
	v_mul_f64 v[98:99], v[46:47], v[114:115]
	v_fma_f64 v[72:73], v[205:206], v[116:117], -v[50:51]
	v_mul_f64 v[50:51], v[26:27], v[114:115]
	s_waitcnt vmcnt(5) lgkmcnt(1)
	v_mul_f64 v[114:115], v[28:29], v[122:123]
	v_fma_f64 v[118:119], v[38:39], v[116:117], v[213:214]
	v_mul_f64 v[116:117], v[20:21], v[122:123]
	s_waitcnt vmcnt(4)
	v_mul_f64 v[122:123], v[30:31], v[126:127]
	ds_read2_b64 v[36:39], v195 offset0:44 offset1:169
	v_add_f64 v[178:179], v[142:143], -v[138:139]
	v_add_f64 v[40:41], v[40:41], v[136:137]
	v_fma_f64 v[198:199], v[64:65], s[6:7], v[48:49]
	v_mul_f64 v[126:127], v[22:23], v[126:127]
	v_add_f64 v[203:204], v[136:137], -v[140:141]
	v_add_f64 v[205:206], v[138:139], -v[142:143]
	v_fma_f64 v[207:208], v[42:43], s[16:17], v[174:175]
	s_waitcnt vmcnt(3) lgkmcnt(1)
	v_mul_f64 v[209:210], v[32:33], v[102:103]
	v_fma_f64 v[110:111], v[24:25], v[108:109], v[88:89]
	v_mul_f64 v[24:25], v[16:17], v[102:103]
	v_add_f64 v[211:212], v[52:53], v[54:55]
	v_add_f64 v[136:137], v[136:137], -v[138:139]
	v_fma_f64 v[96:97], v[44:45], v[108:109], -v[60:61]
	s_waitcnt vmcnt(2)
	v_mul_f64 v[44:45], v[34:35], v[106:107]
	v_add_f64 v[60:61], v[130:131], v[66:67]
	v_fma_f64 v[108:109], v[26:27], v[112:113], v[98:99]
	v_fma_f64 v[26:27], v[42:43], s[6:7], v[174:175]
	v_mul_f64 v[174:175], v[18:19], v[106:107]
	v_fma_f64 v[88:89], v[46:47], v[112:113], -v[50:51]
	v_fma_f64 v[112:113], v[20:21], v[120:121], v[114:115]
	s_waitcnt vmcnt(1) lgkmcnt(0)
	v_mul_f64 v[20:21], v[36:37], v[78:79]
	v_fma_f64 v[102:103], v[28:29], v[120:121], -v[116:117]
	v_fma_f64 v[106:107], v[22:23], v[124:125], v[122:123]
	v_add_f64 v[22:23], v[176:177], v[178:179]
	v_add_f64 v[28:29], v[40:41], v[138:139]
	v_fma_f64 v[40:41], v[42:43], s[14:15], v[198:199]
	v_fma_f64 v[98:99], v[30:31], v[124:125], -v[126:127]
	v_add_f64 v[30:31], v[154:155], v[156:157]
	v_add_f64 v[46:47], v[203:204], v[205:206]
	v_fma_f64 v[50:51], v[64:65], s[14:15], v[207:208]
	v_fma_f64 v[116:117], v[16:17], v[100:101], v[209:210]
	v_fma_f64 v[16:17], v[64:65], s[16:17], v[48:49]
	v_fma_f64 v[100:101], v[32:33], v[100:101], -v[24:25]
	v_fma_f64 v[24:25], v[211:212], -0.5, v[10:11]
	v_add_f64 v[32:33], v[74:75], -v[146:147]
	v_fma_f64 v[114:115], v[18:19], v[104:105], v[44:45]
	v_fma_f64 v[18:19], v[60:61], -0.5, v[10:11]
	v_add_f64 v[44:45], v[128:129], -v[132:133]
	v_add_f64 v[10:11], v[10:11], v[130:131]
	v_fma_f64 v[104:105], v[34:35], v[104:105], -v[174:175]
	v_mul_f64 v[34:35], v[12:13], v[78:79]
	v_fma_f64 v[26:27], v[64:65], s[8:9], v[26:27]
	v_fma_f64 v[78:79], v[12:13], v[76:77], v[20:21]
	v_add_f64 v[12:13], v[152:153], v[8:9]
	v_add_f64 v[64:65], v[148:149], -v[80:81]
	v_mov_b32_e32 v127, 0x258
	v_add_f64 v[20:21], v[28:29], v[142:143]
	v_fma_f64 v[28:29], v[22:23], s[4:5], v[40:41]
	v_add_f64 v[40:41], v[0:1], v[152:153]
	v_fma_f64 v[30:31], v[30:31], -0.5, v[0:1]
	s_waitcnt vmcnt(0)
	v_mul_f64 v[48:49], v[38:39], v[70:71]
	v_mul_f64 v[60:61], v[14:15], v[70:71]
	v_fma_f64 v[121:122], v[46:47], s[4:5], v[50:51]
	v_fma_f64 v[16:17], v[42:43], s[8:9], v[16:17]
	v_add_f64 v[42:43], v[130:131], -v[52:53]
	v_add_f64 v[50:51], v[66:67], -v[54:55]
	v_fma_f64 v[123:124], v[32:33], s[6:7], v[24:25]
	v_add_f64 v[125:126], v[52:53], -v[130:131]
	v_add_f64 v[174:175], v[54:55], -v[66:67]
	v_fma_f64 v[176:177], v[44:45], s[16:17], v[18:19]
	v_fma_f64 v[18:19], v[44:45], s[6:7], v[18:19]
	v_fma_f64 v[24:25], v[32:33], s[16:17], v[24:25]
	v_fma_f64 v[70:71], v[36:37], v[76:77], -v[34:35]
	v_add_f64 v[34:35], v[150:151], -v[92:93]
	v_add_f64 v[36:37], v[10:11], v[52:53]
	v_fma_f64 v[0:1], v[12:13], -0.5, v[0:1]
	v_fma_f64 v[26:27], v[46:47], s[4:5], v[26:27]
	v_mul_u32_u24_sdwa v46, v172, v127 dst_sel:DWORD dst_unused:UNUSED_PAD src0_sel:WORD_0 src1_sel:DWORD
	v_lshlrev_b32_sdwa v10, v201, v173 dst_sel:DWORD dst_unused:UNUSED_PAD src0_sel:DWORD src1_sel:BYTE_0
	v_add_f64 v[172:173], v[152:153], -v[154:155]
	v_add_f64 v[178:179], v[8:9], -v[156:157]
	v_add_f64 v[40:41], v[40:41], v[154:155]
	v_fma_f64 v[198:199], v[64:65], s[6:7], v[30:31]
	v_fma_f64 v[76:77], v[14:15], v[68:69], v[48:49]
	v_fma_f64 v[68:69], v[38:39], v[68:69], -v[60:61]
	v_fma_f64 v[14:15], v[22:23], s[4:5], v[16:17]
	v_add_f64 v[60:61], v[154:155], -v[152:153]
	v_add_f64 v[16:17], v[42:43], v[50:51]
	v_fma_f64 v[22:23], v[44:45], s[14:15], v[123:124]
	v_add_f64 v[123:124], v[156:157], -v[8:9]
	v_add_f64 v[38:39], v[125:126], v[174:175]
	v_fma_f64 v[42:43], v[32:33], s[14:15], v[176:177]
	v_fma_f64 v[18:19], v[32:33], s[8:9], v[18:19]
	v_add_f64 v[32:33], v[90:91], v[94:95]
	v_fma_f64 v[24:25], v[44:45], s[8:9], v[24:25]
	v_add_f64 v[176:177], v[144:145], v[118:119]
	v_add_f64 v[36:37], v[36:37], v[54:55]
	v_fma_f64 v[125:126], v[34:35], s[16:17], v[0:1]
	v_fma_f64 v[0:1], v[34:35], s[6:7], v[0:1]
	v_add3_u32 v120, 0, v46, v10
	ds_read2_b64 v[10:13], v186 offset1:125
	ds_read2_b64 v[48:51], v183 offset0:122 offset1:247
	v_add_f64 v[172:173], v[172:173], v[178:179]
	v_add_f64 v[40:41], v[40:41], v[156:157]
	v_fma_f64 v[174:175], v[34:35], s[14:15], v[198:199]
	ds_read2_b64 v[44:47], v191 offset0:116 offset1:241
	s_waitcnt lgkmcnt(0)
	s_barrier
	buffer_gl0_inv
	ds_write2_b64 v120, v[20:21], v[28:29] offset1:15
	ds_write2_b64 v120, v[121:122], v[26:27] offset0:30 offset1:45
	ds_write_b64 v120, v[14:15] offset:480
	v_fma_f64 v[14:15], v[16:17], s[4:5], v[22:23]
	v_add_f64 v[26:27], v[86:87], -v[72:73]
	v_fma_f64 v[28:29], v[64:65], s[16:17], v[30:31]
	v_fma_f64 v[20:21], v[38:39], s[4:5], v[42:43]
	;; [unrolled: 1-line block ×3, first 2 shown]
	v_fma_f64 v[22:23], v[32:33], -0.5, v[2:3]
	v_mul_u32_u24_sdwa v121, v166, v127 dst_sel:DWORD dst_unused:UNUSED_PAD src0_sel:WORD_0 src1_sel:DWORD
	v_add_f64 v[42:43], v[112:113], v[116:117]
	v_add_f64 v[30:31], v[36:37], v[66:67]
	v_fma_f64 v[32:33], v[64:65], s[14:15], v[125:126]
	v_add_f64 v[36:37], v[110:111], v[78:79]
	v_add_f64 v[126:127], v[106:107], v[114:115]
	v_fma_f64 v[16:17], v[16:17], s[4:5], v[24:25]
	v_add_f64 v[24:25], v[60:61], v[123:124]
	v_add_f64 v[124:125], v[108:109], v[76:77]
	;; [unrolled: 1-line block ×3, first 2 shown]
	v_fma_f64 v[40:41], v[172:173], s[4:5], v[174:175]
	v_fma_f64 v[0:1], v[64:65], s[8:9], v[0:1]
	v_fma_f64 v[60:61], v[176:177], -0.5, v[2:3]
	v_add_f64 v[64:65], v[84:85], -v[82:83]
	v_add_f64 v[176:177], v[90:91], -v[144:145]
	;; [unrolled: 1-line block ×3, first 2 shown]
	v_lshlrev_b32_sdwa v122, v201, v165 dst_sel:DWORD dst_unused:UNUSED_PAD src0_sel:DWORD src1_sel:BYTE_0
	v_add_f64 v[2:3], v[2:3], v[144:145]
	v_add_f64 v[165:166], v[144:145], -v[90:91]
	v_fma_f64 v[28:29], v[34:35], s[8:9], v[28:29]
	v_add_f64 v[198:199], v[78:79], -v[116:117]
	v_add3_u32 v123, 0, v121, v122
	v_mul_u32_u24_e32 v121, 0x258, v170
	v_lshlrev_b32_sdwa v122, v201, v171 dst_sel:DWORD dst_unused:UNUSED_PAD src0_sel:DWORD src1_sel:WORD_0
	v_add_f64 v[170:171], v[118:119], -v[94:95]
	v_fma_f64 v[174:175], v[26:27], s[6:7], v[22:23]
	ds_write2_b64 v123, v[30:31], v[14:15] offset1:15
	v_add_f64 v[14:15], v[102:103], -v[100:101]
	v_add3_u32 v121, 0, v121, v122
	v_fma_f64 v[30:31], v[36:37], -0.5, v[4:5]
	ds_write2_b64 v123, v[20:21], v[18:19] offset0:30 offset1:45
	ds_write_b64 v123, v[16:17] offset:480
	ds_write2_b64 v121, v[38:39], v[40:41] offset1:15
	v_fma_f64 v[16:17], v[42:43], -0.5, v[4:5]
	v_fma_f64 v[40:41], v[126:127], -0.5, v[6:7]
	v_add_f64 v[42:43], v[88:89], -v[68:69]
	v_add_f64 v[18:19], v[96:97], -v[70:71]
	v_fma_f64 v[34:35], v[124:125], -0.5, v[6:7]
	v_add_f64 v[36:37], v[98:99], -v[104:105]
	v_add_f64 v[4:5], v[4:5], v[110:111]
	v_add_f64 v[6:7], v[6:7], v[108:109]
	v_fma_f64 v[20:21], v[24:25], s[4:5], v[32:33]
	v_fma_f64 v[32:33], v[64:65], s[16:17], v[60:61]
	;; [unrolled: 1-line block ×4, first 2 shown]
	v_add_f64 v[126:127], v[176:177], v[178:179]
	v_add_f64 v[176:177], v[134:135], v[62:63]
	;; [unrolled: 1-line block ×4, first 2 shown]
	v_fma_f64 v[124:125], v[64:65], s[14:15], v[174:175]
	v_add_f64 v[165:166], v[112:113], -v[110:111]
	v_add_f64 v[170:171], v[116:117], -v[78:79]
	v_fma_f64 v[174:175], v[14:15], s[16:17], v[30:31]
	v_fma_f64 v[30:31], v[14:15], s[6:7], v[30:31]
	v_add_f64 v[178:179], v[110:111], -v[112:113]
	v_add_f64 v[205:206], v[106:107], -v[108:109]
	;; [unrolled: 1-line block ×3, first 2 shown]
	v_fma_f64 v[215:216], v[42:43], s[6:7], v[40:41]
	v_fma_f64 v[40:41], v[42:43], s[16:17], v[40:41]
	;; [unrolled: 1-line block ×6, first 2 shown]
	v_add_f64 v[211:212], v[108:109], -v[106:107]
	v_add_f64 v[213:214], v[76:77], -v[114:115]
	v_add_f64 v[4:5], v[4:5], v[112:113]
	v_add_f64 v[6:7], v[6:7], v[106:107]
	v_fma_f64 v[32:33], v[26:27], s[14:15], v[32:33]
	v_fma_f64 v[26:27], v[26:27], s[8:9], v[38:39]
	;; [unrolled: 1-line block ×3, first 2 shown]
	v_add_f64 v[38:39], v[10:11], v[56:57]
	v_add_f64 v[64:65], v[140:141], -v[142:143]
	v_fma_f64 v[140:141], v[176:177], -0.5, v[10:11]
	v_add_f64 v[176:177], v[56:57], v[58:59]
	v_add_f64 v[2:3], v[2:3], v[94:95]
	;; [unrolled: 1-line block ×3, first 2 shown]
	v_fma_f64 v[165:166], v[18:19], s[14:15], v[174:175]
	v_fma_f64 v[18:19], v[18:19], s[8:9], v[30:31]
	v_add_f64 v[30:31], v[178:179], v[198:199]
	v_fma_f64 v[178:179], v[36:37], s[14:15], v[215:216]
	v_fma_f64 v[36:37], v[36:37], s[8:9], v[40:41]
	v_add_f64 v[40:41], v[56:57], -v[134:135]
	v_add_f64 v[198:199], v[58:59], -v[62:63]
	v_fma_f64 v[170:171], v[14:15], s[14:15], v[203:204]
	v_fma_f64 v[14:15], v[14:15], s[8:9], v[16:17]
	v_add_f64 v[16:17], v[205:206], v[207:208]
	v_fma_f64 v[174:175], v[42:43], s[14:15], v[209:210]
	v_fma_f64 v[34:35], v[42:43], s[8:9], v[34:35]
	v_add_f64 v[42:43], v[211:212], v[213:214]
	v_add_f64 v[4:5], v[4:5], v[116:117]
	;; [unrolled: 1-line block ×3, first 2 shown]
	v_fma_f64 v[0:1], v[24:25], s[4:5], v[0:1]
	v_add_f64 v[24:25], v[38:39], v[134:135]
	v_fma_f64 v[28:29], v[172:173], s[4:5], v[28:29]
	v_fma_f64 v[138:139], v[60:61], s[4:5], v[124:125]
	v_fma_f64 v[10:11], v[176:177], -0.5, v[10:11]
	v_fma_f64 v[22:23], v[60:61], s[4:5], v[22:23]
	v_add_f64 v[2:3], v[2:3], v[118:119]
	v_fma_f64 v[32:33], v[126:127], s[4:5], v[32:33]
	v_fma_f64 v[26:27], v[126:127], s[4:5], v[26:27]
	;; [unrolled: 1-line block ×5, first 2 shown]
	v_mul_u32_u24_e32 v122, 0x258, v167
	v_add_f64 v[142:143], v[40:41], v[198:199]
	v_mul_u32_u24_e32 v40, 0x258, v158
	v_lshlrev_b32_sdwa v41, v201, v159 dst_sel:DWORD dst_unused:UNUSED_PAD src0_sel:DWORD src1_sel:WORD_0
	v_fma_f64 v[126:127], v[30:31], s[4:5], v[170:171]
	v_fma_f64 v[14:15], v[30:31], s[4:5], v[14:15]
	;; [unrolled: 1-line block ×5, first 2 shown]
	v_add_f64 v[4:5], v[4:5], v[78:79]
	v_add_f64 v[6:7], v[6:7], v[76:77]
	;; [unrolled: 1-line block ×3, first 2 shown]
	ds_write2_b64 v121, v[20:21], v[0:1] offset0:30 offset1:45
	v_add3_u32 v125, 0, v40, v41
	v_add_f64 v[0:1], v[134:135], -v[56:57]
	v_add_f64 v[20:21], v[62:63], -v[58:59]
	v_fma_f64 v[40:41], v[136:137], s[6:7], v[10:11]
	v_fma_f64 v[10:11], v[136:137], s[16:17], v[10:11]
	;; [unrolled: 1-line block ×3, first 2 shown]
	v_mul_u32_u24_e32 v42, 0x258, v164
	v_lshlrev_b32_sdwa v43, v201, v168 dst_sel:DWORD dst_unused:UNUSED_PAD src0_sel:DWORD src1_sel:WORD_0
	v_lshlrev_b32_sdwa v158, v201, v169 dst_sel:DWORD dst_unused:UNUSED_PAD src0_sel:DWORD src1_sel:WORD_0
	ds_write_b64 v121, v[28:29] offset:480
	ds_write2_b64 v125, v[2:3], v[138:139] offset1:15
	ds_write2_b64 v125, v[32:33], v[26:27] offset0:30 offset1:45
	ds_write_b64 v125, v[22:23] offset:480
	v_add_f64 v[22:23], v[12:13], v[74:75]
	v_add3_u32 v124, 0, v42, v43
	v_add3_u32 v122, 0, v122, v158
	v_fma_f64 v[38:39], v[136:137], s[8:9], v[38:39]
	ds_write2_b64 v124, v[4:5], v[126:127] offset1:15
	ds_write2_b64 v124, v[60:61], v[18:19] offset0:30 offset1:45
	ds_write_b64 v124, v[14:15] offset:480
	v_add_f64 v[14:15], v[128:129], v[132:133]
	ds_write2_b64 v122, v[6:7], v[34:35] offset1:15
	ds_write2_b64 v122, v[30:31], v[16:17] offset0:30 offset1:45
	v_add_f64 v[16:17], v[74:75], v[146:147]
	v_fma_f64 v[26:27], v[64:65], s[6:7], v[140:141]
	v_add_f64 v[126:127], v[24:25], v[58:59]
	v_add_f64 v[20:21], v[0:1], v[20:21]
	v_fma_f64 v[24:25], v[64:65], s[8:9], v[40:41]
	v_fma_f64 v[10:11], v[64:65], s[14:15], v[10:11]
	v_add_f64 v[140:141], v[150:151], v[92:93]
	v_add_f64 v[130:131], v[130:131], -v[66:67]
	v_add_f64 v[166:167], v[52:53], -v[54:55]
	v_add_f64 v[168:169], v[148:149], v[80:81]
	v_add_f64 v[174:175], v[74:75], -v[128:129]
	v_add_f64 v[74:75], v[128:129], -v[74:75]
	;; [unrolled: 1-line block ×3, first 2 shown]
	v_add_f64 v[138:139], v[22:23], v[128:129]
	v_add_f64 v[178:179], v[48:49], v[148:149]
	ds_write_b64 v122, v[36:37] offset:480
	v_fma_f64 v[134:135], v[142:143], s[4:5], v[38:39]
	s_waitcnt lgkmcnt(0)
	s_barrier
	buffer_gl0_inv
	v_fma_f64 v[158:159], v[14:15], -0.5, v[12:13]
	ds_read2_b64 v[4:7], v186 offset1:125
	v_fma_f64 v[164:165], v[16:17], -0.5, v[12:13]
	v_fma_f64 v[136:137], v[136:137], s[14:15], v[26:27]
	ds_read2_b64 v[0:3], v183 offset0:122 offset1:247
	ds_read2_b64 v[56:59], v202 offset0:110 offset1:235
	;; [unrolled: 1-line block ×5, first 2 shown]
	v_fma_f64 v[170:171], v[20:21], s[4:5], v[24:25]
	v_fma_f64 v[172:173], v[20:21], s[4:5], v[10:11]
	v_fma_f64 v[140:141], v[140:141], -0.5, v[48:49]
	ds_read2_b64 v[64:67], v185 offset0:74 offset1:199
	ds_read2_b64 v[16:19], v189 offset0:68 offset1:193
	;; [unrolled: 1-line block ×8, first 2 shown]
	v_add_f64 v[154:155], v[154:155], -v[156:157]
	v_add_f64 v[128:129], v[138:139], v[132:133]
	v_add_f64 v[132:133], v[132:133], -v[146:147]
	v_add_f64 v[138:139], v[152:153], -v[8:9]
	ds_read2_b64 v[8:11], v195 offset0:44 offset1:169
	s_waitcnt lgkmcnt(0)
	s_barrier
	v_fma_f64 v[48:49], v[168:169], -0.5, v[48:49]
	v_fma_f64 v[152:153], v[130:131], s[16:17], v[158:159]
	buffer_gl0_inv
	v_fma_f64 v[198:199], v[166:167], s[6:7], v[164:165]
	ds_write2_b64 v120, v[126:127], v[134:135] offset1:15
	ds_write2_b64 v120, v[170:171], v[172:173] offset0:30 offset1:45
	v_fma_f64 v[134:135], v[166:167], s[16:17], v[164:165]
	v_fma_f64 v[156:157], v[130:131], s[6:7], v[158:159]
	;; [unrolled: 1-line block ×3, first 2 shown]
	v_add_f64 v[142:143], v[148:149], -v[150:151]
	v_add_f64 v[158:159], v[80:81], -v[92:93]
	v_add_f64 v[126:127], v[84:85], v[82:83]
	v_add_f64 v[168:169], v[178:179], v[150:151]
	v_add_f64 v[148:149], v[150:151], -v[148:149]
	v_add_f64 v[128:129], v[128:129], v[146:147]
	v_add_f64 v[146:147], v[86:87], v[72:73]
	;; [unrolled: 1-line block ×3, first 2 shown]
	v_fma_f64 v[132:133], v[138:139], s[16:17], v[140:141]
	v_fma_f64 v[140:141], v[138:139], s[6:7], v[140:141]
	v_add_f64 v[150:151], v[102:103], v[100:101]
	v_add_f64 v[164:165], v[174:175], v[176:177]
	v_add_f64 v[172:173], v[92:93], -v[80:81]
	v_fma_f64 v[174:175], v[154:155], s[6:7], v[48:49]
	v_fma_f64 v[170:171], v[130:131], s[8:9], v[198:199]
	;; [unrolled: 1-line block ×3, first 2 shown]
	v_add_f64 v[176:177], v[96:97], v[70:71]
	v_add_f64 v[118:119], v[144:145], -v[118:119]
	v_add_f64 v[144:145], v[50:51], v[86:87]
	v_fma_f64 v[130:131], v[130:131], s[14:15], v[134:135]
	v_fma_f64 v[134:135], v[166:167], s[14:15], v[156:157]
	v_add_f64 v[156:157], v[88:89], v[68:69]
	v_add_f64 v[90:91], v[90:91], -v[94:95]
	v_add_f64 v[142:143], v[142:143], v[158:159]
	v_add_f64 v[158:159], v[98:99], v[104:105]
	v_fma_f64 v[126:127], v[126:127], -0.5, v[50:51]
	v_add_f64 v[78:79], v[110:111], -v[78:79]
	v_fma_f64 v[152:153], v[166:167], s[8:9], v[152:153]
	v_fma_f64 v[50:51], v[146:147], -0.5, v[50:51]
	v_add_f64 v[166:167], v[86:87], -v[84:85]
	v_add_f64 v[178:179], v[72:73], -v[82:83]
	v_fma_f64 v[94:95], v[154:155], s[14:15], v[140:141]
	v_add_f64 v[140:141], v[44:45], v[96:97]
	v_fma_f64 v[110:111], v[150:151], -0.5, v[44:45]
	v_add_f64 v[146:147], v[148:149], v[172:173]
	v_fma_f64 v[148:149], v[138:139], s[8:9], v[174:175]
	v_add_f64 v[112:113], v[112:113], -v[116:117]
	v_fma_f64 v[48:49], v[138:139], s[14:15], v[48:49]
	v_fma_f64 v[44:45], v[176:177], -0.5, v[44:45]
	v_add_f64 v[138:139], v[46:47], v[88:89]
	v_add_f64 v[76:77], v[108:109], -v[76:77]
	v_add_f64 v[106:107], v[106:107], -v[114:115]
	v_add_f64 v[144:145], v[144:145], v[84:85]
	v_fma_f64 v[150:151], v[156:157], -0.5, v[46:47]
	v_add_f64 v[84:85], v[84:85], -v[86:87]
	v_add_f64 v[86:87], v[82:83], -v[72:73]
	v_fma_f64 v[46:47], v[158:159], -0.5, v[46:47]
	v_fma_f64 v[116:117], v[118:119], s[16:17], v[126:127]
	v_fma_f64 v[126:127], v[118:119], s[6:7], v[126:127]
	;; [unrolled: 1-line block ×5, first 2 shown]
	v_add_f64 v[154:155], v[96:97], -v[102:103]
	v_add_f64 v[156:157], v[70:71], -v[100:101]
	v_add_f64 v[140:141], v[140:141], v[102:103]
	v_fma_f64 v[158:159], v[78:79], s[16:17], v[110:111]
	v_add_f64 v[92:93], v[168:169], v[92:93]
	v_add_f64 v[108:109], v[166:167], v[178:179]
	v_add_f64 v[96:97], v[102:103], -v[96:97]
	v_add_f64 v[102:103], v[100:101], -v[70:71]
	v_fma_f64 v[166:167], v[112:113], s[6:7], v[44:45]
	v_fma_f64 v[44:45], v[112:113], s[16:17], v[44:45]
	v_add_f64 v[168:169], v[88:89], -v[98:99]
	v_add_f64 v[172:173], v[68:69], -v[104:105]
	v_fma_f64 v[110:111], v[78:79], s[6:7], v[110:111]
	v_add_f64 v[138:139], v[138:139], v[98:99]
	v_add_f64 v[88:89], v[98:99], -v[88:89]
	v_add_f64 v[98:99], v[104:105], -v[68:69]
	v_fma_f64 v[176:177], v[76:77], s[16:17], v[46:47]
	v_fma_f64 v[46:47], v[76:77], s[6:7], v[46:47]
	;; [unrolled: 1-line block ×5, first 2 shown]
	v_add_f64 v[82:83], v[144:145], v[82:83]
	v_add_f64 v[84:85], v[84:85], v[86:87]
	v_fma_f64 v[86:87], v[118:119], s[8:9], v[114:115]
	v_fma_f64 v[50:51], v[118:119], s[14:15], v[50:51]
	;; [unrolled: 1-line block ×3, first 2 shown]
	v_add_f64 v[114:115], v[154:155], v[156:157]
	v_fma_f64 v[118:119], v[112:113], s[8:9], v[158:159]
	v_add_f64 v[100:101], v[140:141], v[100:101]
	v_add_f64 v[96:97], v[96:97], v[102:103]
	v_fma_f64 v[126:127], v[78:79], s[8:9], v[166:167]
	v_fma_f64 v[44:45], v[78:79], s[14:15], v[44:45]
	v_fma_f64 v[102:103], v[164:165], s[4:5], v[152:153]
	v_add_f64 v[78:79], v[168:169], v[172:173]
	v_fma_f64 v[110:111], v[112:113], s[14:15], v[110:111]
	v_fma_f64 v[112:113], v[74:75], s[4:5], v[170:171]
	v_add_f64 v[104:105], v[138:139], v[104:105]
	v_add_f64 v[88:89], v[88:89], v[98:99]
	v_fma_f64 v[138:139], v[106:107], s[8:9], v[176:177]
	v_fma_f64 v[46:47], v[106:107], s[14:15], v[46:47]
	;; [unrolled: 1-line block ×6, first 2 shown]
	v_add_f64 v[80:81], v[92:93], v[80:81]
	v_fma_f64 v[92:93], v[142:143], s[4:5], v[132:133]
	v_fma_f64 v[106:107], v[146:147], s[4:5], v[148:149]
	v_fma_f64 v[48:49], v[146:147], s[4:5], v[48:49]
	v_fma_f64 v[94:95], v[142:143], s[4:5], v[94:95]
	v_add_f64 v[72:73], v[82:83], v[72:73]
	v_fma_f64 v[82:83], v[108:109], s[4:5], v[116:117]
	v_fma_f64 v[86:87], v[84:85], s[4:5], v[86:87]
	v_fma_f64 v[50:51], v[84:85], s[4:5], v[50:51]
	v_fma_f64 v[90:91], v[108:109], s[4:5], v[90:91]
	;; [unrolled: 5-line block ×3, first 2 shown]
	v_add_f64 v[68:69], v[104:105], v[68:69]
	ds_write_b64 v120, v[136:137] offset:480
	ds_write2_b64 v123, v[128:129], v[102:103] offset1:15
	ds_write2_b64 v123, v[112:113], v[74:75] offset0:30 offset1:45
	v_fma_f64 v[46:47], v[78:79], s[4:5], v[46:47]
	v_fma_f64 v[96:97], v[88:89], s[4:5], v[98:99]
	;; [unrolled: 1-line block ×4, first 2 shown]
	ds_write_b64 v123, v[130:131] offset:480
	ds_write2_b64 v121, v[80:81], v[92:93] offset1:15
	ds_write2_b64 v121, v[106:107], v[48:49] offset0:30 offset1:45
	v_mul_lo_u16 v48, 0xdb, v181
	v_add_nc_u32_e32 v98, 0xffffffb5, v180
	ds_write_b64 v121, v[94:95] offset:480
	v_mov_b32_e32 v116, 0
	ds_write2_b64 v125, v[72:73], v[82:83] offset1:15
	v_lshrrev_b16 v171, 14, v48
	v_cndmask_b32_e64 v170, v98, v180, s0
	ds_write2_b64 v125, v[86:87], v[50:51] offset0:30 offset1:45
	ds_write_b64 v125, v[90:91] offset:480
	ds_write2_b64 v124, v[70:71], v[84:85] offset1:15
	v_mov_b32_e32 v51, 0xb4e9
	ds_write2_b64 v124, v[108:109], v[44:45] offset0:30 offset1:45
	ds_write_b64 v124, v[100:101] offset:480
	ds_write2_b64 v122, v[68:69], v[88:89] offset1:15
	ds_write2_b64 v122, v[96:97], v[76:77] offset0:30 offset1:45
	v_mul_lo_u16 v50, 0x4b, v171
	v_mul_i32_i24_e32 v115, 9, v170
	ds_write_b64 v122, v[46:47] offset:480
	v_mul_u32_u24_sdwa v47, v197, v51 dst_sel:DWORD dst_unused:UNUSED_PAD src0_sel:WORD_0 src1_sel:DWORD
	s_waitcnt lgkmcnt(0)
	v_sub_nc_u16 v169, v242, v50
	v_mov_b32_e32 v50, 9
	v_lshlrev_b64 v[48:49], 4, v[115:116]
	v_lshrrev_b32_e32 v47, 16, v47
	s_barrier
	buffer_gl0_inv
	v_mul_u32_u24_sdwa v46, v169, v50 dst_sel:DWORD dst_unused:UNUSED_PAD src0_sel:BYTE_0 src1_sel:DWORD
	v_lshlrev_b32_e32 v170, 3, v170
	v_add_co_u32 v44, s0, s12, v48
	v_add_co_ci_u32_e64 v45, s0, s13, v49, s0
	v_lshlrev_b32_e32 v46, 4, v46
	v_sub_nc_u16 v48, v197, v47
	v_cmp_lt_u32_e64 s0, 0x4a, v180
	s_clause 0x4
	global_load_dwordx4 v[96:99], v[44:45], off offset:1168
	global_load_dwordx4 v[117:120], v[44:45], off offset:1200
	global_load_dwordx4 v[121:124], v46, s[12:13] offset:1168
	global_load_dwordx4 v[127:130], v46, s[12:13] offset:1200
	;; [unrolled: 1-line block ×3, first 2 shown]
	v_lshrrev_b16 v48, 1, v48
	s_clause 0x3
	global_load_dwordx4 v[131:134], v[44:45], off offset:1232
	global_load_dwordx4 v[149:152], v[44:45], off offset:1264
	global_load_dwordx4 v[155:158], v46, s[12:13] offset:1264
	global_load_dwordx4 v[172:175], v[44:45], off offset:1216
	v_add_nc_u16 v47, v48, v47
	v_lshlrev_b32_sdwa v169, v201, v169 dst_sel:DWORD dst_unused:UNUSED_PAD src0_sel:DWORD src1_sel:BYTE_0
	v_lshrrev_b16 v159, 6, v47
	v_mul_lo_u16 v47, 0x4b, v159
	v_sub_nc_u16 v168, v197, v47
	v_mul_u32_u24_sdwa v47, v168, v50 dst_sel:DWORD dst_unused:UNUSED_PAD src0_sel:WORD_0 src1_sel:DWORD
	v_lshlrev_b32_sdwa v168, v201, v168 dst_sel:DWORD dst_unused:UNUSED_PAD src0_sel:DWORD src1_sel:WORD_0
	v_lshlrev_b32_e32 v47, 4, v47
	s_clause 0x11
	global_load_dwordx4 v[176:179], v[44:45], off offset:1248
	global_load_dwordx4 v[202:205], v46, s[12:13] offset:1152
	global_load_dwordx4 v[206:209], v47, s[12:13] offset:1152
	global_load_dwordx4 v[210:213], v[44:45], off offset:1184
	global_load_dwordx4 v[214:217], v47, s[12:13] offset:1168
	global_load_dwordx4 v[112:115], v[44:45], off offset:1280
	global_load_dwordx4 v[100:103], v[44:45], off offset:1152
	global_load_dwordx4 v[108:111], v46, s[12:13] offset:1184
	global_load_dwordx4 v[104:107], v47, s[12:13] offset:1184
	;; [unrolled: 1-line block ×11, first 2 shown]
	ds_read2_b64 v[141:144], v182 offset0:110 offset1:235
	ds_read2_b64 v[164:167], v251 offset0:92 offset1:217
	;; [unrolled: 1-line block ×6, first 2 shown]
	s_waitcnt vmcnt(26) lgkmcnt(5)
	v_mul_f64 v[125:126], v[141:142], v[98:99]
	v_mul_f64 v[98:99], v[56:57], v[98:99]
	s_waitcnt vmcnt(25) lgkmcnt(4)
	v_mul_f64 v[135:136], v[164:165], v[119:120]
	v_mul_f64 v[119:120], v[60:61], v[119:120]
	s_waitcnt vmcnt(24)
	v_mul_f64 v[145:146], v[143:144], v[123:124]
	v_mul_f64 v[153:154], v[58:59], v[123:124]
	s_waitcnt vmcnt(23)
	v_mul_f64 v[198:199], v[166:167], v[129:130]
	v_mul_f64 v[129:130], v[62:63], v[129:130]
	s_waitcnt vmcnt(21) lgkmcnt(3)
	v_mul_f64 v[234:235], v[218:219], v[133:134]
	v_mul_f64 v[236:237], v[64:65], v[133:134]
	;; [unrolled: 1-line block ×4, first 2 shown]
	v_fma_f64 v[147:148], v[56:57], v[96:97], v[125:126]
	v_fma_f64 v[133:134], v[141:142], v[96:97], -v[98:99]
	v_fma_f64 v[141:142], v[60:61], v[117:118], v[135:136]
	v_fma_f64 v[135:136], v[164:165], v[117:118], -v[119:120]
	;; [unrolled: 2-line block ×3, first 2 shown]
	s_waitcnt vmcnt(20) lgkmcnt(2)
	v_mul_f64 v[117:118], v[222:223], v[151:152]
	v_fma_f64 v[121:122], v[166:167], v[127:128], -v[129:130]
	v_mul_f64 v[145:146], v[32:33], v[151:152]
	s_waitcnt vmcnt(19)
	v_mul_f64 v[151:152], v[224:225], v[157:158]
	v_mul_f64 v[157:158], v[34:35], v[157:158]
	s_waitcnt vmcnt(18)
	v_mul_f64 v[164:165], v[30:31], v[174:175]
	s_waitcnt vmcnt(17)
	v_mul_f64 v[166:167], v[18:19], v[178:179]
	v_fma_f64 v[125:126], v[62:63], v[127:128], v[198:199]
	ds_read2_b64 v[60:63], v190 offset0:86 offset1:211
	ds_read2_b64 v[96:99], v189 offset0:68 offset1:193
	;; [unrolled: 1-line block ×3, first 2 shown]
	v_fma_f64 v[143:144], v[64:65], v[131:132], v[234:235]
	v_fma_f64 v[139:140], v[218:219], v[131:132], -v[236:237]
	v_fma_f64 v[129:130], v[66:67], v[137:138], v[238:239]
	s_waitcnt vmcnt(16) lgkmcnt(4)
	v_mul_f64 v[198:199], v[226:227], v[204:205]
	v_mul_f64 v[204:205], v[52:53], v[204:205]
	s_waitcnt vmcnt(15)
	v_mul_f64 v[218:219], v[228:229], v[208:209]
	v_fma_f64 v[127:128], v[220:221], v[137:138], -v[240:241]
	v_mul_f64 v[208:209], v[54:55], v[208:209]
	s_waitcnt vmcnt(14) lgkmcnt(3)
	v_mul_f64 v[220:221], v[232:233], v[212:213]
	v_mul_f64 v[212:213], v[42:43], v[212:213]
	s_waitcnt vmcnt(13)
	v_mul_f64 v[234:235], v[230:231], v[216:217]
	v_fma_f64 v[153:154], v[32:33], v[149:150], v[117:118]
	ds_read2_b64 v[64:67], v192 offset0:98 offset1:223
	v_fma_f64 v[137:138], v[222:223], v[149:150], -v[145:146]
	v_fma_f64 v[131:132], v[34:35], v[155:156], v[151:152]
	v_fma_f64 v[117:118], v[224:225], v[155:156], -v[157:158]
	s_waitcnt vmcnt(12)
	v_mul_f64 v[222:223], v[14:15], v[114:115]
	s_waitcnt lgkmcnt(3)
	v_mul_f64 v[174:175], v[62:63], v[174:175]
	v_fma_f64 v[149:150], v[62:63], v[172:173], -v[164:165]
	s_waitcnt lgkmcnt(2)
	v_mul_f64 v[178:179], v[98:99], v[178:179]
	s_waitcnt vmcnt(11)
	v_mul_f64 v[224:225], v[2:3], v[102:103]
	v_fma_f64 v[151:152], v[98:99], v[176:177], -v[166:167]
	s_waitcnt lgkmcnt(1)
	v_mul_f64 v[236:237], v[58:59], v[114:115]
	ds_read2_b64 v[32:35], v183 offset0:122 offset1:247
	v_mul_f64 v[216:217], v[40:41], v[216:217]
	v_fma_f64 v[164:165], v[52:53], v[202:203], v[198:199]
	v_fma_f64 v[145:146], v[226:227], v[202:203], -v[204:205]
	v_fma_f64 v[157:158], v[54:55], v[206:207], v[218:219]
	s_waitcnt vmcnt(10)
	v_mul_f64 v[202:203], v[36:37], v[110:111]
	v_fma_f64 v[98:99], v[228:229], v[206:207], -v[208:209]
	v_fma_f64 v[166:167], v[42:43], v[210:211], v[220:221]
	v_fma_f64 v[155:156], v[232:233], v[210:211], -v[212:213]
	s_waitcnt lgkmcnt(1)
	v_mul_f64 v[198:199], v[64:65], v[110:111]
	s_waitcnt vmcnt(9)
	v_mul_f64 v[204:205], v[66:67], v[106:107]
	v_mul_f64 v[206:207], v[38:39], v[106:107]
	s_waitcnt vmcnt(8)
	v_mul_f64 v[110:111], v[60:61], v[94:95]
	ds_read2_b64 v[52:55], v193 offset0:80 offset1:205
	v_fma_f64 v[114:115], v[40:41], v[214:215], v[234:235]
	ds_read2_b64 v[40:43], v243 offset0:62 offset1:187
	v_fma_f64 v[106:107], v[30:31], v[172:173], v[174:175]
	v_mul_f64 v[94:95], v[28:29], v[94:95]
	v_fma_f64 v[30:31], v[18:19], v[176:177], v[178:179]
	v_fma_f64 v[18:19], v[58:59], v[112:113], -v[222:223]
	s_waitcnt lgkmcnt(2)
	v_mul_f64 v[208:209], v[34:35], v[102:103]
	v_fma_f64 v[102:103], v[34:35], v[100:101], -v[224:225]
	v_add_f64 v[58:59], v[149:150], v[151:152]
	v_fma_f64 v[112:113], v[14:15], v[112:113], v[236:237]
	s_waitcnt vmcnt(5)
	v_mul_f64 v[210:211], v[96:97], v[82:83]
	v_mul_f64 v[212:213], v[16:17], v[82:83]
	ds_read2_b64 v[172:175], v195 offset0:44 offset1:169
	v_fma_f64 v[14:15], v[64:65], v[108:109], -v[202:203]
	v_fma_f64 v[62:63], v[230:231], v[214:215], -v[216:217]
	v_add_f64 v[224:225], v[123:124], v[131:132]
	v_mov_b32_e32 v195, v243
	v_fma_f64 v[82:83], v[36:37], v[108:109], v[198:199]
	s_waitcnt vmcnt(4)
	v_mul_f64 v[108:109], v[24:25], v[78:79]
	s_waitcnt lgkmcnt(2)
	v_mul_f64 v[176:177], v[52:53], v[90:91]
	v_mul_f64 v[90:91], v[20:21], v[90:91]
	;; [unrolled: 1-line block ×4, first 2 shown]
	s_waitcnt lgkmcnt(1)
	v_mul_f64 v[64:65], v[40:41], v[78:79]
	v_fma_f64 v[78:79], v[38:39], v[104:105], v[204:205]
	s_waitcnt vmcnt(3)
	v_mul_f64 v[198:199], v[42:43], v[74:75]
	v_fma_f64 v[34:35], v[66:67], v[104:105], -v[206:207]
	v_mul_f64 v[66:67], v[26:27], v[74:75]
	v_fma_f64 v[2:3], v[2:3], v[100:101], v[208:209]
	v_fma_f64 v[36:37], v[28:29], v[92:93], v[110:111]
	v_add_f64 v[100:101], v[155:156], v[18:19]
	v_fma_f64 v[104:105], v[58:59], -0.5, v[102:103]
	v_add_f64 v[110:111], v[166:167], -v[112:113]
	v_add_f64 v[74:75], v[106:107], v[30:31]
	v_fma_f64 v[38:39], v[60:61], v[92:93], -v[94:95]
	v_fma_f64 v[60:61], v[16:17], v[80:81], v[210:211]
	v_add_f64 v[94:95], v[153:154], -v[143:144]
	v_add_f64 v[202:203], v[151:152], -v[18:19]
	;; [unrolled: 1-line block ×3, first 2 shown]
	s_waitcnt vmcnt(0) lgkmcnt(0)
	v_mul_f64 v[208:209], v[174:175], v[46:47]
	v_fma_f64 v[92:93], v[20:21], v[88:89], v[176:177]
	v_fma_f64 v[28:29], v[52:53], v[88:89], -v[90:91]
	v_mul_f64 v[88:89], v[172:173], v[70:71]
	v_fma_f64 v[20:21], v[22:23], v[84:85], v[178:179]
	v_fma_f64 v[58:59], v[54:55], v[84:85], -v[86:87]
	v_add_f64 v[22:23], v[166:167], v[112:113]
	v_fma_f64 v[84:85], v[24:25], v[76:77], v[64:65]
	v_fma_f64 v[24:25], v[40:41], v[76:77], -v[108:109]
	v_add_f64 v[40:41], v[4:5], v[147:148]
	v_fma_f64 v[16:17], v[26:27], v[72:73], v[198:199]
	v_add_f64 v[26:27], v[155:156], -v[149:150]
	v_add_f64 v[64:65], v[18:19], -v[151:152]
	v_fma_f64 v[54:55], v[42:43], v[72:73], -v[66:67]
	v_add_f64 v[66:67], v[106:107], -v[30:31]
	v_fma_f64 v[72:73], v[100:101], -0.5, v[102:103]
	v_fma_f64 v[76:77], v[110:111], s[16:17], v[104:105]
	v_mul_f64 v[86:87], v[56:57], v[50:51]
	v_fma_f64 v[52:53], v[96:97], v[80:81], -v[212:213]
	v_add_f64 v[80:81], v[141:142], v[143:144]
	v_fma_f64 v[42:43], v[74:75], -0.5, v[2:3]
	v_add_f64 v[74:75], v[155:156], -v[18:19]
	v_mul_f64 v[90:91], v[12:13], v[50:51]
	v_mul_f64 v[50:51], v[8:9], v[70:71]
	v_add_f64 v[70:71], v[147:148], -v[141:142]
	v_fma_f64 v[88:89], v[8:9], v[68:69], v[88:89]
	v_add_f64 v[8:9], v[147:148], v[153:154]
	v_add_f64 v[96:97], v[149:150], -v[151:152]
	v_fma_f64 v[100:101], v[22:23], -0.5, v[2:3]
	v_add_f64 v[2:3], v[2:3], v[166:167]
	v_add_f64 v[176:177], v[112:113], -v[30:31]
	v_add_f64 v[22:23], v[40:41], v[141:142]
	v_add_f64 v[40:41], v[166:167], -v[106:107]
	v_add_f64 v[178:179], v[28:29], v[24:25]
	v_add_f64 v[64:65], v[26:27], v[64:65]
	v_add_f64 v[198:199], v[149:150], -v[155:156]
	v_add_f64 v[108:109], v[133:134], -v[137:138]
	v_fma_f64 v[204:205], v[66:67], s[6:7], v[72:73]
	v_fma_f64 v[76:77], v[66:67], s[8:9], v[76:77]
	;; [unrolled: 1-line block ×5, first 2 shown]
	v_fma_f64 v[80:81], v[80:81], -0.5, v[4:5]
	v_fma_f64 v[206:207], v[74:75], s[6:7], v[42:43]
	v_add_f64 v[166:167], v[106:107], -v[166:167]
	v_fma_f64 v[50:51], v[172:173], v[68:69], -v[50:51]
	v_add_f64 v[70:71], v[70:71], v[94:95]
	v_add_f64 v[172:173], v[82:83], -v[88:89]
	v_fma_f64 v[4:5], v[8:9], -0.5, v[4:5]
	v_add_f64 v[8:9], v[30:31], -v[112:113]
	v_fma_f64 v[86:87], v[96:97], s[16:17], v[100:101]
	v_add_f64 v[2:3], v[2:3], v[106:107]
	v_fma_f64 v[42:43], v[74:75], s[16:17], v[42:43]
	v_add_f64 v[104:105], v[22:23], v[143:144]
	v_add_f64 v[94:95], v[40:41], v[176:177]
	;; [unrolled: 1-line block ×3, first 2 shown]
	v_fma_f64 v[106:107], v[178:179], -0.5, v[145:146]
	v_add_f64 v[176:177], v[198:199], v[202:203]
	v_add_f64 v[214:215], v[14:15], -v[28:29]
	v_fma_f64 v[178:179], v[110:111], s[8:9], v[204:205]
	v_fma_f64 v[22:23], v[64:65], s[4:5], v[76:77]
	;; [unrolled: 1-line block ×7, first 2 shown]
	v_add_f64 v[100:101], v[141:142], -v[147:148]
	v_add_f64 v[110:111], v[143:144], -v[153:154]
	v_add_f64 v[206:207], v[125:126], v[129:130]
	v_add_f64 v[216:217], v[50:51], -v[24:25]
	v_fma_f64 v[202:203], v[210:211], s[16:17], v[4:5]
	v_add_f64 v[166:167], v[166:167], v[8:9]
	v_fma_f64 v[86:87], v[74:75], s[14:15], v[86:87]
	v_add_f64 v[220:221], v[14:15], -v[50:51]
	v_add_f64 v[222:223], v[92:93], -v[84:85]
	v_fma_f64 v[4:5], v[210:211], s[6:7], v[4:5]
	v_add_f64 v[2:3], v[2:3], v[30:31]
	v_fma_f64 v[218:219], v[40:41], -0.5, v[164:165]
	v_fma_f64 v[40:41], v[172:173], s[16:17], v[106:107]
	v_fma_f64 v[80:81], v[108:109], s[16:17], v[80:81]
	;; [unrolled: 1-line block ×4, first 2 shown]
	v_add_f64 v[96:97], v[88:89], -v[84:85]
	v_fma_f64 v[74:75], v[74:75], s[8:9], v[76:77]
	v_fma_f64 v[66:67], v[176:177], s[4:5], v[72:73]
	;; [unrolled: 1-line block ×5, first 2 shown]
	v_add_f64 v[64:65], v[82:83], -v[92:93]
	v_add_f64 v[76:77], v[100:101], v[110:111]
	v_add_f64 v[204:205], v[28:29], -v[24:25]
	v_add_f64 v[198:199], v[214:215], v[216:217]
	v_fma_f64 v[100:101], v[108:109], s[14:15], v[202:203]
	v_mul_f64 v[72:73], v[22:23], s[14:15]
	v_fma_f64 v[68:69], v[166:167], s[4:5], v[86:87]
	v_fma_f64 v[86:87], v[206:207], -0.5, v[6:7]
	v_add_f64 v[110:111], v[6:7], v[123:124]
	v_fma_f64 v[4:5], v[108:109], s[8:9], v[4:5]
	v_add_f64 v[176:177], v[119:120], -v[117:118]
	v_fma_f64 v[202:203], v[220:221], s[6:7], v[218:219]
	v_fma_f64 v[206:207], v[222:223], s[8:9], v[40:41]
	v_add_f64 v[178:179], v[164:165], v[82:83]
	v_add_f64 v[108:109], v[2:3], v[112:113]
	v_mul_f64 v[214:215], v[8:9], s[6:7]
	v_fma_f64 v[2:3], v[210:211], s[8:9], v[80:81]
	v_fma_f64 v[40:41], v[166:167], s[4:5], v[74:75]
	v_mul_f64 v[74:75], v[66:67], s[6:7]
	v_fma_f64 v[42:43], v[94:95], s[4:5], v[42:43]
	v_mul_f64 v[80:81], v[30:31], s[14:15]
	v_add_f64 v[104:105], v[104:105], v[153:154]
	v_add_f64 v[96:97], v[64:65], v[96:97]
	v_fma_f64 v[212:213], v[70:71], s[4:5], v[212:213]
	v_add_f64 v[94:95], v[123:124], -v[125:126]
	v_add_f64 v[112:113], v[131:132], -v[129:130]
	v_fma_f64 v[100:101], v[76:77], s[4:5], v[100:101]
	v_fma_f64 v[72:73], v[12:13], s[18:19], v[72:73]
	v_add_f64 v[210:211], v[121:122], -v[127:128]
	v_fma_f64 v[48:49], v[56:57], v[48:49], -v[90:91]
	v_add_f64 v[110:111], v[110:111], v[125:126]
	v_fma_f64 v[76:77], v[76:77], s[4:5], v[4:5]
	v_fma_f64 v[166:167], v[176:177], s[6:7], v[86:87]
	;; [unrolled: 1-line block ×4, first 2 shown]
	v_add_f64 v[178:179], v[178:179], v[92:93]
	v_mul_f64 v[4:5], v[10:11], v[46:47]
	v_fma_f64 v[206:207], v[68:69], s[4:5], v[214:215]
	v_add_f64 v[56:57], v[14:15], v[50:51]
	v_fma_f64 v[90:91], v[70:71], s[4:5], v[2:3]
	v_fma_f64 v[74:75], v[40:41], s[20:21], v[74:75]
	v_add_f64 v[226:227], v[82:83], v[88:89]
	v_fma_f64 v[80:81], v[42:43], s[22:23], v[80:81]
	v_add_f64 v[214:215], v[104:105], v[108:109]
	v_fma_f64 v[10:11], v[10:11], v[44:45], v[208:209]
	v_add_f64 v[104:105], v[104:105], -v[108:109]
	v_fma_f64 v[6:7], v[224:225], -0.5, v[6:7]
	v_add_f64 v[94:95], v[94:95], v[112:113]
	v_cndmask_b32_e64 v2, 0, 0x1770, s0
	v_add_f64 v[216:217], v[212:213], v[72:73]
	v_add_f64 v[82:83], v[92:93], -v[82:83]
	v_fma_f64 v[106:107], v[172:173], s[6:7], v[106:107]
	v_add_f64 v[110:111], v[110:111], v[129:130]
	v_add3_u32 v70, 0, v2, v170
	v_fma_f64 v[112:113], v[210:211], s[14:15], v[166:167]
	v_fma_f64 v[46:47], v[96:97], s[4:5], v[202:203]
	;; [unrolled: 1-line block ×3, first 2 shown]
	v_add_f64 v[166:167], v[178:179], v[84:85]
	v_mul_f64 v[178:179], v[64:65], s[14:15]
	v_add_f64 v[202:203], v[100:101], v[206:207]
	v_fma_f64 v[44:45], v[174:175], v[44:45], -v[4:5]
	v_fma_f64 v[56:57], v[56:57], -0.5, v[145:146]
	v_add_f64 v[228:229], v[76:77], v[74:75]
	v_add_f64 v[74:75], v[76:77], -v[74:75]
	v_add_f64 v[108:109], v[90:91], v[80:81]
	v_add_f64 v[76:77], v[90:91], -v[80:81]
	v_fma_f64 v[80:81], v[226:227], -0.5, v[164:165]
	ds_read2_b64 v[2:5], v186 offset1:125
	s_waitcnt lgkmcnt(0)
	s_barrier
	buffer_gl0_inv
	v_add_nc_u32_e32 v71, 0x800, v70
	ds_write2_b64 v70, v[214:215], v[216:217] offset1:75
	v_add_f64 v[174:175], v[212:213], -v[72:73]
	v_add_f64 v[110:111], v[110:111], v[131:132]
	v_add_f64 v[100:101], v[100:101], -v[206:207]
	v_fma_f64 v[112:113], v[94:95], s[4:5], v[112:113]
	v_add_f64 v[90:91], v[28:29], -v[14:15]
	v_add_f64 v[164:165], v[24:25], -v[50:51]
	v_add_f64 v[166:167], v[166:167], v[88:89]
	v_fma_f64 v[178:179], v[46:47], s[18:19], v[178:179]
	v_fma_f64 v[206:207], v[210:211], s[16:17], v[6:7]
	v_add_f64 v[92:93], v[34:35], v[44:45]
	v_add_f64 v[84:85], v[84:85], -v[88:89]
	ds_write2_b64 v70, v[202:203], v[228:229] offset0:150 offset1:225
	v_mov_b32_e32 v228, 0x1770
	v_fma_f64 v[202:203], v[222:223], s[6:7], v[56:57]
	ds_write2_b64 v71, v[108:109], v[104:105] offset0:44 offset1:119
	v_add_f64 v[104:105], v[58:59], v[54:55]
	v_add_f64 v[108:109], v[125:126], -v[123:124]
	v_mul_u32_u24_sdwa v216, v171, v228 dst_sel:DWORD dst_unused:UNUSED_PAD src0_sel:WORD_0 src1_sel:DWORD
	v_add_f64 v[170:171], v[129:130], -v[131:132]
	v_fma_f64 v[56:57], v[222:223], s[16:17], v[56:57]
	v_fma_f64 v[88:89], v[204:205], s[16:17], v[80:81]
	;; [unrolled: 1-line block ×3, first 2 shown]
	v_add_nc_u32_e32 v72, 0xc00, v70
	v_add_nc_u32_e32 v73, 0x1000, v70
	v_fma_f64 v[6:7], v[210:211], s[6:7], v[6:7]
	v_fma_f64 v[214:215], v[220:221], s[16:17], v[218:219]
	v_add3_u32 v229, 0, v216, v169
	v_add_f64 v[90:91], v[90:91], v[164:165]
	v_add_f64 v[208:209], v[110:111], v[166:167]
	;; [unrolled: 1-line block ×3, first 2 shown]
	ds_write2_b64 v72, v[174:175], v[100:101] offset0:66 offset1:141
	v_add_f64 v[100:101], v[20:21], v[16:17]
	v_add_f64 v[174:175], v[78:79], -v[10:11]
	ds_write2_b64 v73, v[74:75], v[76:77] offset0:88 offset1:163
	v_add_f64 v[74:75], v[78:79], v[10:11]
	v_fma_f64 v[164:165], v[172:173], s[8:9], v[202:203]
	v_add_f64 v[76:77], v[20:21], -v[16:17]
	v_fma_f64 v[104:105], v[104:105], -0.5, v[98:99]
	v_fma_f64 v[92:93], v[92:93], -0.5, v[98:99]
	v_add_f64 v[82:83], v[82:83], v[84:85]
	v_add_f64 v[108:109], v[108:109], v[170:171]
	v_fma_f64 v[56:57], v[172:173], s[14:15], v[56:57]
	v_fma_f64 v[169:170], v[176:177], s[14:15], v[206:207]
	;; [unrolled: 1-line block ×8, first 2 shown]
	v_add_f64 v[171:172], v[36:37], v[60:61]
	v_add_f64 v[176:177], v[34:35], -v[58:59]
	ds_write2_b64 v229, v[208:209], v[212:213] offset1:75
	v_add_f64 v[202:203], v[44:45], -v[54:55]
	v_fma_f64 v[100:101], v[100:101], -0.5, v[157:158]
	v_add_f64 v[204:205], v[34:35], -v[44:45]
	v_add_f64 v[208:209], v[114:115], v[26:27]
	v_fma_f64 v[74:75], v[74:75], -0.5, v[157:158]
	v_fma_f64 v[164:165], v[90:91], s[4:5], v[164:165]
	v_add_f64 v[210:211], v[58:59], -v[34:35]
	v_fma_f64 v[206:207], v[174:175], s[16:17], v[104:105]
	v_add_f64 v[212:213], v[54:55], -v[44:45]
	v_fma_f64 v[214:215], v[76:77], s[6:7], v[92:93]
	v_fma_f64 v[92:93], v[76:77], s[16:17], v[92:93]
	;; [unrolled: 1-line block ×4, first 2 shown]
	v_add_f64 v[169:170], v[58:59], -v[54:55]
	v_fma_f64 v[84:85], v[82:83], s[4:5], v[84:85]
	v_fma_f64 v[80:81], v[82:83], s[4:5], v[80:81]
	;; [unrolled: 1-line block ×4, first 2 shown]
	v_add_f64 v[104:105], v[78:79], -v[20:21]
	v_add_f64 v[198:199], v[10:11], -v[16:17]
	v_fma_f64 v[171:172], v[171:172], -0.5, v[0:1]
	v_add_f64 v[216:217], v[0:1], v[114:115]
	v_add_f64 v[218:219], v[62:63], -v[48:49]
	v_add_f64 v[157:158], v[157:158], v[78:79]
	v_add_f64 v[176:177], v[176:177], v[202:203]
	v_fma_f64 v[202:203], v[204:205], s[6:7], v[100:101]
	v_fma_f64 v[0:1], v[208:209], -0.5, v[0:1]
	v_add_f64 v[208:209], v[38:39], -v[52:53]
	v_add_f64 v[78:79], v[20:21], -v[78:79]
	v_fma_f64 v[206:207], v[76:77], s[8:9], v[206:207]
	v_add_f64 v[220:221], v[16:17], -v[10:11]
	v_add_f64 v[210:211], v[210:211], v[212:213]
	v_fma_f64 v[212:213], v[174:175], s[8:9], v[214:215]
	v_fma_f64 v[92:93], v[174:175], s[14:15], v[92:93]
	;; [unrolled: 1-line block ×7, first 2 shown]
	v_mul_f64 v[106:107], v[56:57], s[6:7]
	v_add_f64 v[173:174], v[114:115], -v[36:37]
	v_add_f64 v[214:215], v[26:27], -v[60:61]
	v_mul_f64 v[82:83], v[164:165], s[6:7]
	v_add_f64 v[104:105], v[104:105], v[198:199]
	v_add_f64 v[198:199], v[216:217], v[36:37]
	v_fma_f64 v[216:217], v[218:219], s[6:7], v[171:172]
	v_add_f64 v[20:21], v[157:158], v[20:21]
	v_fma_f64 v[157:158], v[169:170], s[14:15], v[202:203]
	v_add_f64 v[224:225], v[60:61], -v[26:27]
	v_fma_f64 v[226:227], v[208:209], s[16:17], v[0:1]
	v_fma_f64 v[0:1], v[208:209], s[6:7], v[0:1]
	;; [unrolled: 1-line block ×3, first 2 shown]
	v_add_f64 v[206:207], v[36:37], -v[114:115]
	v_add_f64 v[78:79], v[78:79], v[220:221]
	v_fma_f64 v[171:172], v[218:219], s[16:17], v[171:172]
	v_fma_f64 v[92:93], v[210:211], s[4:5], v[92:93]
	;; [unrolled: 1-line block ×8, first 2 shown]
	v_mul_f64 v[169:170], v[88:89], s[14:15]
	v_fma_f64 v[94:95], v[80:81], s[20:21], v[106:107]
	v_add_f64 v[106:107], v[173:174], v[214:215]
	v_add_f64 v[173:174], v[135:136], v[139:140]
	v_fma_f64 v[6:7], v[108:109], s[4:5], v[6:7]
	v_fma_f64 v[82:83], v[84:85], s[4:5], v[82:83]
	v_add_f64 v[108:109], v[198:199], v[60:61]
	v_fma_f64 v[175:176], v[208:209], s[14:15], v[216:217]
	v_add_f64 v[16:17], v[20:21], v[16:17]
	v_fma_f64 v[157:158], v[104:105], s[4:5], v[157:158]
	v_fma_f64 v[0:1], v[218:219], s[8:9], v[0:1]
	v_mul_f64 v[20:21], v[202:203], s[14:15]
	v_add_f64 v[198:199], v[206:207], v[224:225]
	v_fma_f64 v[206:207], v[218:219], s[14:15], v[226:227]
	v_fma_f64 v[171:172], v[208:209], s[8:9], v[171:172]
	v_mul_f64 v[212:213], v[92:93], s[6:7]
	v_add_f64 v[110:111], v[110:111], -v[166:167]
	v_fma_f64 v[210:211], v[78:79], s[4:5], v[220:221]
	v_fma_f64 v[74:75], v[78:79], s[4:5], v[74:75]
	v_mul_f64 v[78:79], v[204:205], s[6:7]
	v_fma_f64 v[100:101], v[104:105], s[4:5], v[100:101]
	v_mul_f64 v[104:105], v[76:77], s[14:15]
	v_fma_f64 v[169:170], v[96:97], s[22:23], v[169:170]
	v_add_f64 v[102:103], v[102:103], v[155:156]
	v_add_f64 v[147:148], v[147:148], -v[153:154]
	v_add_f64 v[153:154], v[2:3], v[133:134]
	v_fma_f64 v[166:167], v[173:174], -0.5, v[2:3]
	v_add_f64 v[112:113], v[112:113], -v[178:179]
	v_add_f64 v[155:156], v[90:91], v[82:83]
	v_add_f64 v[82:83], v[90:91], -v[82:83]
	v_add_f64 v[90:91], v[6:7], v[94:95]
	v_add_f64 v[173:174], v[133:134], v[137:138]
	;; [unrolled: 1-line block ×3, first 2 shown]
	v_fma_f64 v[175:176], v[106:107], s[4:5], v[175:176]
	v_add_f64 v[10:11], v[16:17], v[10:11]
	v_fma_f64 v[16:17], v[157:158], s[18:19], v[20:21]
	v_fma_f64 v[20:21], v[198:199], s[4:5], v[206:207]
	;; [unrolled: 1-line block ×3, first 2 shown]
	v_add_f64 v[6:7], v[6:7], -v[94:95]
	v_fma_f64 v[94:95], v[106:107], s[4:5], v[171:172]
	v_fma_f64 v[177:178], v[74:75], s[20:21], v[212:213]
	;; [unrolled: 1-line block ×3, first 2 shown]
	v_add_f64 v[141:142], v[141:142], -v[143:144]
	v_fma_f64 v[104:105], v[100:101], s[22:23], v[104:105]
	v_add_f64 v[106:107], v[86:87], v[169:170]
	v_add_f64 v[86:87], v[86:87], -v[169:170]
	v_add_f64 v[102:103], v[102:103], v[149:150]
	v_add_f64 v[149:150], v[133:134], -v[135:136]
	v_add_f64 v[169:170], v[137:138], -v[139:140]
	v_add_f64 v[143:144], v[153:154], v[135:136]
	v_fma_f64 v[153:154], v[147:148], s[16:17], v[166:167]
	v_add_f64 v[133:134], v[135:136], -v[133:134]
	v_add_f64 v[135:136], v[139:140], -v[137:138]
	v_fma_f64 v[2:3], v[173:174], -0.5, v[2:3]
	v_mul_u32_u24_sdwa v159, v159, v228 dst_sel:DWORD dst_unused:UNUSED_PAD src0_sel:WORD_0 src1_sel:DWORD
	v_add_nc_u32_e32 v179, 0x800, v229
	v_add_f64 v[171:172], v[108:109], v[10:11]
	v_add_f64 v[173:174], v[175:176], v[16:17]
	v_add_f64 v[10:11], v[108:109], -v[10:11]
	v_add_f64 v[16:17], v[175:176], -v[16:17]
	v_add3_u32 v159, 0, v159, v168
	v_add_nc_u32_e32 v201, 0xc00, v229
	v_add_f64 v[206:207], v[0:1], v[177:178]
	v_add_f64 v[198:199], v[20:21], v[78:79]
	v_add_f64 v[20:21], v[20:21], -v[78:79]
	v_add_f64 v[108:109], v[94:95], v[104:105]
	v_add_f64 v[0:1], v[0:1], -v[177:178]
	v_add_f64 v[78:79], v[94:95], -v[104:105]
	v_add_f64 v[94:95], v[102:103], v[151:152]
	v_add_nc_u32_e32 v151, 0x1000, v159
	v_add_f64 v[102:103], v[149:150], v[169:170]
	v_add_f64 v[104:105], v[143:144], v[139:140]
	v_fma_f64 v[143:144], v[141:142], s[8:9], v[153:154]
	v_add_nc_u32_e32 v149, 0x800, v159
	v_add_nc_u32_e32 v150, 0xc00, v159
	;; [unrolled: 1-line block ×3, first 2 shown]
	v_fma_f64 v[139:140], v[141:142], s[6:7], v[2:3]
	ds_write2_b64 v229, v[155:156], v[90:91] offset0:150 offset1:225
	ds_write2_b64 v179, v[106:107], v[110:111] offset0:44 offset1:119
	;; [unrolled: 1-line block ×4, first 2 shown]
	ds_write2_b64 v159, v[171:172], v[173:174] offset1:75
	ds_write2_b64 v159, v[198:199], v[206:207] offset0:150 offset1:225
	ds_write2_b64 v149, v[108:109], v[10:11] offset0:44 offset1:119
	;; [unrolled: 1-line block ×3, first 2 shown]
	v_add_f64 v[6:7], v[121:122], v[127:128]
	v_add_f64 v[20:21], v[119:120], v[117:118]
	ds_write2_b64 v151, v[0:1], v[78:79] offset0:88 offset1:163
	v_add_f64 v[78:79], v[94:95], v[18:19]
	v_fma_f64 v[90:91], v[147:148], s[6:7], v[166:167]
	v_add_f64 v[86:87], v[104:105], v[137:138]
	v_fma_f64 v[94:95], v[102:103], s[4:5], v[143:144]
	v_add_f64 v[104:105], v[133:134], v[135:136]
	v_mul_f64 v[110:111], v[8:9], s[4:5]
	v_add_f64 v[112:113], v[145:146], v[14:15]
	v_add_f64 v[133:134], v[38:39], v[52:53]
	v_add_f64 v[135:136], v[4:5], v[119:120]
	v_add_f64 v[143:144], v[62:63], v[48:49]
	v_fma_f64 v[2:3], v[141:142], s[16:17], v[2:3]
	v_fma_f64 v[106:107], v[147:148], s[8:9], v[139:140]
	v_add_f64 v[125:126], v[125:126], -v[129:130]
	v_add_f64 v[123:124], v[123:124], -v[131:132]
	;; [unrolled: 1-line block ×4, first 2 shown]
	v_add_f64 v[131:132], v[32:33], v[62:63]
	v_add_f64 v[119:120], v[121:122], -v[119:120]
	v_add_f64 v[98:99], v[98:99], v[34:35]
	v_fma_f64 v[137:138], v[6:7], -0.5, v[4:5]
	v_fma_f64 v[139:140], v[20:21], -0.5, v[4:5]
	v_add_f64 v[60:61], v[36:37], -v[60:61]
	v_add_f64 v[129:130], v[117:118], -v[127:128]
	v_fma_f64 v[90:91], v[141:142], s[14:15], v[90:91]
	v_add_f64 v[145:146], v[48:49], -v[52:53]
	v_mul_f64 v[22:23], v[22:23], s[18:19]
	v_mul_f64 v[66:67], v[66:67], s[20:21]
	v_fma_f64 v[68:69], v[68:69], s[16:17], v[110:111]
	v_add_f64 v[110:111], v[112:113], v[28:29]
	v_fma_f64 v[112:113], v[133:134], -0.5, v[32:33]
	v_add_f64 v[133:134], v[135:136], v[121:122]
	v_add_f64 v[121:122], v[127:128], -v[117:118]
	v_fma_f64 v[135:136], v[143:144], -0.5, v[32:33]
	v_fma_f64 v[108:109], v[147:148], s[14:15], v[2:3]
	v_add_f64 v[143:144], v[62:63], -v[38:39]
	v_add_f64 v[62:63], v[38:39], -v[62:63]
	v_fma_f64 v[106:107], v[104:105], s[4:5], v[106:107]
	v_mul_f64 v[64:65], v[64:65], s[18:19]
	v_add_f64 v[131:132], v[131:132], v[38:39]
	v_mul_f64 v[56:57], v[56:57], s[20:21]
	v_add_f64 v[58:59], v[98:99], v[58:59]
	v_mul_f64 v[88:89], v[88:89], s[22:23]
	v_fma_f64 v[141:142], v[125:126], s[6:7], v[139:140]
	v_fma_f64 v[139:140], v[125:126], s[16:17], v[139:140]
	v_add_f64 v[129:130], v[26:27], v[129:130]
	v_fma_f64 v[90:91], v[102:103], s[4:5], v[90:91]
	v_fma_f64 v[102:103], v[123:124], s[16:17], v[137:138]
	v_fma_f64 v[137:138], v[123:124], s[6:7], v[137:138]
	v_mul_f64 v[92:93], v[92:93], s[20:21]
	v_mul_f64 v[76:77], v[76:77], s[22:23]
	v_add_f64 v[110:111], v[110:111], v[24:25]
	v_fma_f64 v[147:148], v[114:115], s[16:17], v[112:113]
	v_fma_f64 v[112:113], v[114:115], s[6:7], v[112:113]
	v_add_f64 v[127:128], v[133:134], v[127:128]
	v_add_f64 v[133:134], v[52:53], -v[48:49]
	v_add_f64 v[98:99], v[119:120], v[121:122]
	v_fma_f64 v[121:122], v[60:61], s[6:7], v[135:136]
	v_fma_f64 v[135:136], v[60:61], s[16:17], v[135:136]
	;; [unrolled: 1-line block ×3, first 2 shown]
	v_mul_f64 v[108:109], v[30:31], s[22:23]
	v_add_f64 v[52:53], v[131:132], v[52:53]
	v_fma_f64 v[82:83], v[12:13], s[8:9], v[22:23]
	v_add_f64 v[54:55], v[58:59], v[54:55]
	v_mul_f64 v[58:59], v[202:203], s[18:19]
	v_fma_f64 v[119:120], v[123:124], s[8:9], v[141:142]
	v_fma_f64 v[123:124], v[123:124], s[14:15], v[139:140]
	v_mul_f64 v[139:140], v[164:165], s[4:5]
	v_fma_f64 v[66:67], v[40:41], s[16:17], v[66:67]
	v_fma_f64 v[102:103], v[125:126], s[8:9], v[102:103]
	;; [unrolled: 1-line block ×3, first 2 shown]
	v_add_f64 v[137:138], v[143:144], v[145:146]
	v_mul_f64 v[145:146], v[204:205], s[4:5]
	v_add_f64 v[50:51], v[110:111], v[50:51]
	v_fma_f64 v[141:142], v[60:61], s[8:9], v[147:148]
	v_fma_f64 v[60:61], v[60:61], s[14:15], v[112:113]
	v_add_f64 v[112:113], v[86:87], v[78:79]
	v_add_f64 v[62:63], v[62:63], v[133:134]
	v_fma_f64 v[46:47], v[46:47], s[8:9], v[64:65]
	v_fma_f64 v[121:122], v[114:115], s[8:9], v[121:122]
	;; [unrolled: 1-line block ×3, first 2 shown]
	v_add_f64 v[64:65], v[127:128], v[117:118]
	v_fma_f64 v[108:109], v[42:43], s[8:9], v[108:109]
	v_fma_f64 v[56:57], v[80:81], s[16:17], v[56:57]
	v_add_f64 v[78:79], v[86:87], -v[78:79]
	v_fma_f64 v[88:89], v[96:97], s[8:9], v[88:89]
	v_add_f64 v[48:49], v[52:53], v[48:49]
	v_fma_f64 v[110:111], v[98:99], s[4:5], v[119:120]
	v_fma_f64 v[98:99], v[98:99], s[4:5], v[123:124]
	;; [unrolled: 1-line block ×3, first 2 shown]
	v_add_f64 v[44:45], v[54:55], v[44:45]
	v_fma_f64 v[102:103], v[129:130], s[4:5], v[102:103]
	v_fma_f64 v[86:87], v[129:130], s[4:5], v[125:126]
	;; [unrolled: 1-line block ×8, first 2 shown]
	s_waitcnt lgkmcnt(0)
	s_barrier
	v_fma_f64 v[60:61], v[62:63], s[4:5], v[121:122]
	v_fma_f64 v[62:63], v[62:63], s[4:5], v[114:115]
	buffer_gl0_inv
	ds_read2_b64 v[0:3], v186 offset1:125
	ds_read2_b64 v[8:11], v182 offset0:110 offset1:235
	ds_read2_b64 v[12:15], v251 offset0:92 offset1:217
	;; [unrolled: 1-line block ×10, first 2 shown]
	v_add_f64 v[131:132], v[94:95], v[82:83]
	v_add_f64 v[133:134], v[106:107], v[68:69]
	;; [unrolled: 1-line block ×4, first 2 shown]
	v_add_f64 v[82:83], v[94:95], -v[82:83]
	v_add_f64 v[68:69], v[106:107], -v[68:69]
	;; [unrolled: 1-line block ×4, first 2 shown]
	v_add_f64 v[92:93], v[64:65], v[50:51]
	v_add_f64 v[94:95], v[102:103], v[46:47]
	;; [unrolled: 1-line block ×4, first 2 shown]
	v_add_f64 v[64:65], v[64:65], -v[50:51]
	v_add_f64 v[102:103], v[102:103], -v[46:47]
	;; [unrolled: 1-line block ×4, first 2 shown]
	v_add_f64 v[106:107], v[86:87], v[88:89]
	v_add_f64 v[86:87], v[86:87], -v[88:89]
	v_add_f64 v[88:89], v[48:49], v[44:45]
	v_add_f64 v[108:109], v[48:49], -v[44:45]
	;; [unrolled: 2-line block ×4, first 2 shown]
	v_add_f64 v[96:97], v[62:63], v[74:75]
	v_add_f64 v[119:120], v[54:55], v[76:77]
	v_add_f64 v[62:63], v[62:63], -v[74:75]
	v_add_f64 v[74:75], v[54:55], -v[76:77]
	ds_read2_b64 v[48:51], v192 offset0:98 offset1:223
	ds_read2_b64 v[56:59], v193 offset0:80 offset1:205
	;; [unrolled: 1-line block ×4, first 2 shown]
	s_waitcnt lgkmcnt(0)
	s_barrier
	buffer_gl0_inv
	ds_write2_b64 v70, v[112:113], v[131:132] offset1:75
	ds_write2_b64 v70, v[133:134], v[143:144] offset0:150 offset1:225
	ds_write2_b64 v71, v[80:81], v[78:79] offset0:44 offset1:119
	ds_write2_b64 v72, v[82:83], v[68:69] offset0:66 offset1:141
	ds_write2_b64 v73, v[66:67], v[90:91] offset0:88 offset1:163
	ds_write2_b64 v229, v[92:93], v[94:95] offset1:75
	ds_write2_b64 v229, v[100:101], v[104:105] offset0:150 offset1:225
	ds_write2_b64 v179, v[106:107], v[64:65] offset0:44 offset1:119
	ds_write2_b64 v201, v[102:103], v[84:85] offset0:66 offset1:141
	ds_write2_b64 v208, v[98:99], v[86:87] offset0:88 offset1:163
	;; [unrolled: 5-line block ×3, first 2 shown]
	s_waitcnt lgkmcnt(0)
	s_barrier
	buffer_gl0_inv
	s_and_saveexec_b32 s0, vcc_lo
	s_cbranch_execz .LBB0_15
; %bb.14:
	v_lshlrev_b32_e32 v115, 2, v244
	v_mul_lo_u32 v159, s3, v162
	v_mul_lo_u32 v163, s2, v163
	v_lshlrev_b64 v[60:61], 4, v[115:116]
	v_lshlrev_b32_e32 v115, 2, v200
	v_lshlrev_b64 v[76:77], 4, v[115:116]
	v_add_co_u32 v62, vcc_lo, s12, v60
	v_add_co_ci_u32_e32 v63, vcc_lo, s13, v61, vcc_lo
	v_lshlrev_b32_e32 v115, 2, v196
	v_add_co_u32 v60, vcc_lo, 0x2800, v62
	v_add_co_ci_u32_e32 v61, vcc_lo, 0, v63, vcc_lo
	v_add_co_u32 v72, vcc_lo, 0x2eb0, v62
	v_add_co_ci_u32_e32 v73, vcc_lo, 0, v63, vcc_lo
	;; [unrolled: 2-line block ×3, first 2 shown]
	v_lshlrev_b64 v[76:77], 4, v[115:116]
	v_add_co_u32 v84, vcc_lo, 0x2eb0, v78
	v_add_co_ci_u32_e32 v85, vcc_lo, 0, v79, vcc_lo
	v_add_co_u32 v86, vcc_lo, 0x2800, v78
	v_add_co_ci_u32_e32 v87, vcc_lo, 0, v79, vcc_lo
	;; [unrolled: 2-line block ×3, first 2 shown]
	v_lshlrev_b32_e32 v115, 2, v197
	v_add_co_u32 v94, vcc_lo, 0x2800, v88
	v_add_co_ci_u32_e32 v95, vcc_lo, 0, v89, vcc_lo
	v_add_co_u32 v106, vcc_lo, 0x2eb0, v88
	s_clause 0x5
	global_load_dwordx4 v[64:67], v[60:61], off offset:1712
	global_load_dwordx4 v[60:63], v[72:73], off offset:48
	;; [unrolled: 1-line block ×6, first 2 shown]
	v_add_co_ci_u32_e32 v107, vcc_lo, 0, v89, vcc_lo
	s_clause 0x1
	global_load_dwordx4 v[86:89], v[86:87], off offset:1712
	global_load_dwordx4 v[90:93], v[84:85], off offset:48
	v_lshlrev_b64 v[84:85], 4, v[115:116]
	v_lshlrev_b32_e32 v115, 2, v242
	s_clause 0x3
	global_load_dwordx4 v[94:97], v[94:95], off offset:1712
	global_load_dwordx4 v[98:101], v[106:107], off offset:48
	;; [unrolled: 1-line block ×4, first 2 shown]
	v_add_co_u32 v110, vcc_lo, s12, v84
	v_add_co_ci_u32_e32 v111, vcc_lo, s13, v85, vcc_lo
	v_lshlrev_b64 v[84:85], 4, v[115:116]
	v_add_co_u32 v125, vcc_lo, 0x2eb0, v110
	v_add_co_ci_u32_e32 v126, vcc_lo, 0, v111, vcc_lo
	v_lshlrev_b32_e32 v115, 2, v180
	v_add_co_u32 v112, vcc_lo, s12, v84
	v_add_co_ci_u32_e32 v113, vcc_lo, s13, v85, vcc_lo
	v_add_co_u32 v84, vcc_lo, 0x2800, v110
	v_add_co_ci_u32_e32 v85, vcc_lo, 0, v111, vcc_lo
	;; [unrolled: 2-line block ×4, first 2 shown]
	s_clause 0x1
	global_load_dwordx4 v[110:113], v[125:126], off offset:16
	global_load_dwordx4 v[117:120], v[84:85], off offset:1712
	v_lshlrev_b64 v[84:85], 4, v[115:116]
	s_clause 0x5
	global_load_dwordx4 v[121:124], v[125:126], off offset:32
	global_load_dwordx4 v[125:128], v[125:126], off offset:48
	;; [unrolled: 1-line block ×6, first 2 shown]
	v_add_co_u32 v114, vcc_lo, s12, v84
	v_add_co_ci_u32_e32 v115, vcc_lo, s13, v85, vcc_lo
	v_add_co_u32 v84, vcc_lo, 0x2eb0, v114
	v_add_co_ci_u32_e32 v85, vcc_lo, 0, v115, vcc_lo
	;; [unrolled: 2-line block ×3, first 2 shown]
	s_clause 0x3
	global_load_dwordx4 v[145:148], v[84:85], off offset:16
	global_load_dwordx4 v[149:152], v[114:115], off offset:1712
	;; [unrolled: 1-line block ×4, first 2 shown]
	ds_read2_b64 v[168:171], v193 offset0:80 offset1:205
	ds_read2_b64 v[172:175], v195 offset0:62 offset1:187
	;; [unrolled: 1-line block ×8, first 2 shown]
	v_mad_u64_u32 v[84:85], null, s2, v162, 0
	ds_read2_b64 v[208:211], v187 offset0:50 offset1:175
	ds_read2_b64 v[212:215], v183 offset0:122 offset1:247
	;; [unrolled: 1-line block ×6, first 2 shown]
	ds_read2_b64 v[228:231], v186 offset1:125
	v_add3_u32 v85, v85, v163, v159
	v_lshlrev_b64 v[84:85], 4, v[84:85]
	v_add_co_u32 v84, vcc_lo, s10, v84
	v_add_co_ci_u32_e32 v85, vcc_lo, s11, v85, vcc_lo
	s_waitcnt vmcnt(23)
	v_mul_f64 v[186:187], v[50:51], v[66:67]
	s_waitcnt vmcnt(22)
	v_mul_f64 v[232:233], v[46:47], v[62:63]
	;; [unrolled: 2-line block ×4, first 2 shown]
	s_waitcnt lgkmcnt(14)
	v_mul_f64 v[74:75], v[170:171], v[74:75]
	s_waitcnt vmcnt(18)
	v_mul_f64 v[157:158], v[56:57], v[82:83]
	v_mul_f64 v[82:83], v[168:169], v[82:83]
	s_waitcnt lgkmcnt(13)
	v_mul_f64 v[70:71], v[174:175], v[70:71]
	v_mul_f64 v[234:235], v[52:53], v[78:79]
	;; [unrolled: 1-line block ×3, first 2 shown]
	s_waitcnt lgkmcnt(12)
	v_mul_f64 v[66:67], v[178:179], v[66:67]
	s_waitcnt lgkmcnt(11)
	v_mul_f64 v[62:63], v[194:195], v[62:63]
	s_waitcnt vmcnt(17)
	v_mul_f64 v[236:237], v[48:49], v[88:89]
	s_waitcnt vmcnt(16)
	v_mul_f64 v[238:239], v[44:45], v[92:93]
	v_fma_f64 v[162:163], v[68:69], v[174:175], -v[162:163]
	v_fma_f64 v[114:115], v[72:73], v[170:171], -v[114:115]
	v_fma_f64 v[58:59], v[58:59], v[72:73], v[74:75]
	v_mul_f64 v[72:73], v[176:177], v[88:89]
	v_mul_f64 v[74:75], v[192:193], v[92:93]
	v_fma_f64 v[88:89], v[80:81], v[168:169], -v[157:158]
	s_waitcnt vmcnt(12)
	v_mul_f64 v[92:93], v[34:35], v[108:109]
	v_mul_f64 v[157:158], v[30:31], v[96:97]
	v_fma_f64 v[56:57], v[56:57], v[80:81], v[82:83]
	v_mul_f64 v[80:81], v[38:39], v[104:105]
	v_mul_f64 v[82:83], v[42:43], v[100:101]
	s_waitcnt lgkmcnt(9)
	v_mul_f64 v[108:109], v[202:203], v[108:109]
	s_waitcnt lgkmcnt(7)
	v_mul_f64 v[104:105], v[190:191], v[104:105]
	v_fma_f64 v[54:55], v[54:55], v[68:69], v[70:71]
	v_mul_f64 v[68:69], v[206:207], v[96:97]
	s_waitcnt lgkmcnt(6)
	v_mul_f64 v[70:71], v[210:211], v[100:101]
	v_fma_f64 v[96:97], v[76:77], v[172:173], -v[234:235]
	s_waitcnt vmcnt(11)
	v_mul_f64 v[100:101], v[32:33], v[112:113]
	s_waitcnt vmcnt(10)
	v_mul_f64 v[168:169], v[28:29], v[119:120]
	v_fma_f64 v[52:53], v[52:53], v[76:77], v[78:79]
	s_waitcnt vmcnt(9)
	v_mul_f64 v[76:77], v[36:37], v[123:124]
	s_waitcnt vmcnt(8)
	v_mul_f64 v[78:79], v[40:41], v[127:128]
	v_mul_f64 v[112:113], v[200:201], v[112:113]
	;; [unrolled: 1-line block ×3, first 2 shown]
	v_fma_f64 v[170:171], v[64:65], v[178:179], -v[186:187]
	v_fma_f64 v[50:51], v[50:51], v[64:65], v[66:67]
	v_mul_f64 v[64:65], v[204:205], v[119:120]
	v_mul_f64 v[66:67], v[208:209], v[127:128]
	v_fma_f64 v[119:120], v[86:87], v[176:177], -v[236:237]
	s_waitcnt vmcnt(4)
	v_mul_f64 v[127:128], v[14:15], v[143:144]
	v_mul_f64 v[172:173], v[10:11], v[131:132]
	v_fma_f64 v[48:49], v[48:49], v[86:87], v[72:73]
	v_mul_f64 v[72:73], v[18:19], v[139:140]
	v_mul_f64 v[86:87], v[22:23], v[135:136]
	s_waitcnt lgkmcnt(4)
	v_mul_f64 v[143:144], v[218:219], v[143:144]
	s_waitcnt lgkmcnt(2)
	v_mul_f64 v[139:140], v[226:227], v[139:140]
	v_fma_f64 v[174:175], v[60:61], v[194:195], -v[232:233]
	v_fma_f64 v[46:47], v[46:47], v[60:61], v[62:63]
	v_mul_f64 v[60:61], v[222:223], v[131:132]
	s_waitcnt lgkmcnt(1)
	v_mul_f64 v[62:63], v[184:185], v[135:136]
	v_fma_f64 v[131:132], v[90:91], v[192:193], -v[238:239]
	s_waitcnt vmcnt(3)
	v_mul_f64 v[135:136], v[12:13], v[147:148]
	s_waitcnt vmcnt(2)
	v_mul_f64 v[176:177], v[8:9], v[151:152]
	v_fma_f64 v[44:45], v[44:45], v[90:91], v[74:75]
	s_waitcnt vmcnt(1)
	v_mul_f64 v[74:75], v[16:17], v[155:156]
	s_waitcnt vmcnt(0)
	v_mul_f64 v[90:91], v[20:21], v[166:167]
	v_mul_f64 v[147:148], v[216:217], v[147:148]
	;; [unrolled: 1-line block ×3, first 2 shown]
	v_fma_f64 v[92:93], v[106:107], v[202:203], -v[92:93]
	v_fma_f64 v[34:35], v[34:35], v[106:107], v[108:109]
	v_mul_f64 v[106:107], v[220:221], v[151:152]
	v_mul_f64 v[108:109], v[182:183], v[166:167]
	v_fma_f64 v[151:152], v[94:95], v[206:207], -v[157:158]
	v_fma_f64 v[80:81], v[102:103], v[190:191], -v[80:81]
	;; [unrolled: 1-line block ×3, first 2 shown]
	v_fma_f64 v[38:39], v[38:39], v[102:103], v[104:105]
	v_fma_f64 v[30:31], v[30:31], v[94:95], v[68:69]
	;; [unrolled: 1-line block ×3, first 2 shown]
	v_fma_f64 v[68:69], v[110:111], v[200:201], -v[100:101]
	v_fma_f64 v[70:71], v[117:118], v[204:205], -v[168:169]
	v_fma_f64 v[76:77], v[121:122], v[188:189], -v[76:77]
	v_fma_f64 v[78:79], v[125:126], v[208:209], -v[78:79]
	v_fma_f64 v[32:33], v[32:33], v[110:111], v[112:113]
	v_fma_f64 v[36:37], v[36:37], v[121:122], v[123:124]
	;; [unrolled: 1-line block ×4, first 2 shown]
	v_fma_f64 v[64:65], v[141:142], v[218:219], -v[127:128]
	v_fma_f64 v[66:67], v[129:130], v[222:223], -v[172:173]
	;; [unrolled: 1-line block ×4, first 2 shown]
	v_fma_f64 v[98:99], v[14:15], v[141:142], v[143:144]
	v_fma_f64 v[100:101], v[18:19], v[137:138], v[139:140]
	;; [unrolled: 1-line block ×4, first 2 shown]
	v_add_f64 v[14:15], v[114:115], -v[170:171]
	v_add_f64 v[18:19], v[162:163], -v[174:175]
	v_add_f64 v[60:61], v[170:171], v[174:175]
	v_add_f64 v[62:63], v[50:51], -v[46:47]
	v_add_f64 v[72:73], v[170:171], -v[114:115]
	v_add_f64 v[104:105], v[174:175], -v[162:163]
	v_add_f64 v[110:111], v[114:115], v[162:163]
	v_add_f64 v[112:113], v[170:171], v[198:199]
	v_add_f64 v[117:118], v[58:59], -v[50:51]
	v_add_f64 v[121:122], v[54:55], -v[46:47]
	;; [unrolled: 1-line block ×3, first 2 shown]
	v_add_f64 v[125:126], v[50:51], v[46:47]
	v_add_f64 v[129:130], v[50:51], -v[58:59]
	v_add_f64 v[133:134], v[46:47], -v[54:55]
	v_add_f64 v[137:138], v[58:59], v[54:55]
	v_add_f64 v[50:51], v[26:27], v[50:51]
	v_fma_f64 v[135:136], v[145:146], v[216:217], -v[135:136]
	v_fma_f64 v[139:140], v[149:150], v[220:221], -v[176:177]
	;; [unrolled: 1-line block ×4, first 2 shown]
	v_fma_f64 v[90:91], v[12:13], v[145:146], v[147:148]
	v_fma_f64 v[145:146], v[16:17], v[153:154], v[155:156]
	;; [unrolled: 1-line block ×4, first 2 shown]
	v_add_f64 v[8:9], v[88:89], -v[119:120]
	v_add_f64 v[12:13], v[96:97], -v[131:132]
	;; [unrolled: 1-line block ×5, first 2 shown]
	v_add_f64 v[155:156], v[119:120], v[196:197]
	v_add_f64 v[157:158], v[56:57], -v[48:49]
	v_add_f64 v[164:165], v[52:53], -v[44:45]
	v_add_f64 v[166:167], v[48:49], v[44:45]
	v_add_f64 v[170:171], v[48:49], -v[56:57]
	v_add_f64 v[172:173], v[44:45], -v[52:53]
	v_add_f64 v[48:49], v[24:25], v[48:49]
	v_add_f64 v[178:179], v[92:93], -v[151:152]
	v_add_f64 v[181:182], v[80:81], -v[82:83]
	v_add_f64 v[185:186], v[151:152], v[82:83]
	v_add_f64 v[189:190], v[151:152], -v[92:93]
	v_add_f64 v[191:192], v[82:83], -v[80:81]
	v_add_f64 v[193:194], v[92:93], v[80:81]
	v_add_f64 v[202:203], v[34:35], -v[30:31]
	v_add_f64 v[204:205], v[38:39], -v[42:43]
	v_add_f64 v[206:207], v[30:31], v[42:43]
	v_add_f64 v[218:219], v[34:35], v[38:39]
	;; [unrolled: 1-line block ×7, first 2 shown]
	v_add_f64 v[187:188], v[30:31], -v[42:43]
	v_add_f64 v[200:201], v[151:152], v[214:215]
	v_add_f64 v[210:211], v[30:31], -v[34:35]
	v_add_f64 v[30:31], v[6:7], v[30:31]
	v_add_f64 v[22:23], v[58:59], -v[54:55]
	v_add_f64 v[127:128], v[114:115], -v[162:163]
	;; [unrolled: 1-line block ×7, first 2 shown]
	v_add_f64 v[240:241], v[70:71], v[212:213]
	v_fma_f64 v[60:61], v[60:61], -0.5, v[198:199]
	v_fma_f64 v[110:111], v[110:111], -0.5, v[198:199]
	;; [unrolled: 1-line block ×5, first 2 shown]
	v_add_f64 v[166:167], v[64:65], -v[66:67]
	v_fma_f64 v[185:186], v[185:186], -0.5, v[214:215]
	v_fma_f64 v[193:194], v[193:194], -0.5, v[214:215]
	;; [unrolled: 1-line block ×4, first 2 shown]
	v_add_f64 v[238:239], v[66:67], v[86:87]
	v_add_f64 v[14:15], v[14:15], v[18:19]
	v_add_f64 v[18:19], v[10:11], -v[102:103]
	v_add_f64 v[72:73], v[72:73], v[104:105]
	v_add_f64 v[104:105], v[66:67], -v[64:65]
	;; [unrolled: 2-line block ×3, first 2 shown]
	v_add_f64 v[117:118], v[117:118], v[121:122]
	v_add_f64 v[121:122], v[64:65], v[94:95]
	;; [unrolled: 1-line block ×3, first 2 shown]
	s_waitcnt lgkmcnt(0)
	v_add_f64 v[133:134], v[66:67], v[230:231]
	v_add_f64 v[50:51], v[58:59], v[50:51]
	v_add_f64 v[252:253], v[98:99], -v[10:11]
	v_add_f64 v[58:59], v[8:9], v[12:13]
	v_add_f64 v[8:9], v[66:67], -v[86:87]
	v_add_f64 v[66:67], v[108:109], v[149:150]
	v_add_f64 v[12:13], v[10:11], v[102:103]
	;; [unrolled: 1-line block ×4, first 2 shown]
	v_add_f64 v[155:156], v[10:11], -v[98:99]
	v_add_f64 v[157:158], v[170:171], v[172:173]
	v_add_f64 v[164:165], v[98:99], v[100:101]
	;; [unrolled: 1-line block ×7, first 2 shown]
	v_fma_f64 v[205:206], v[206:207], -0.5, v[6:7]
	v_fma_f64 v[6:7], v[218:219], -0.5, v[6:7]
	v_add_f64 v[119:120], v[119:120], -v[131:132]
	v_add_f64 v[183:184], v[34:35], -v[38:39]
	;; [unrolled: 1-line block ×8, first 2 shown]
	v_add_f64 v[246:247], v[28:29], v[40:41]
	v_add_f64 v[250:251], v[28:29], -v[32:33]
	v_fma_f64 v[20:21], v[20:21], -0.5, v[196:197]
	v_fma_f64 v[153:154], v[153:154], -0.5, v[196:197]
	v_add_f64 v[197:198], v[32:33], v[36:37]
	v_add_f64 v[28:29], v[4:5], v[28:29]
	v_fma_f64 v[24:25], v[176:177], -0.5, v[24:25]
	v_add_f64 v[176:177], v[94:95], -v[86:87]
	v_add_f64 v[48:49], v[139:140], v[143:144]
	v_add_f64 v[92:93], v[92:93], v[200:201]
	;; [unrolled: 1-line block ×5, first 2 shown]
	v_add_f64 v[244:245], v[36:37], -v[40:41]
	v_add_f64 v[108:109], v[64:65], -v[94:95]
	v_add_f64 v[218:219], v[234:235], v[236:237]
	v_add_f64 v[104:105], v[104:105], v[114:115]
	v_fma_f64 v[114:115], v[121:122], -0.5, v[230:231]
	v_add_f64 v[121:122], v[64:65], v[133:134]
	v_fma_f64 v[12:13], v[12:13], -0.5, v[2:3]
	v_fma_f64 v[164:165], v[164:165], -0.5, v[2:3]
	v_fma_f64 v[2:3], v[22:23], s[16:17], v[60:61]
	v_fma_f64 v[60:61], v[22:23], s[6:7], v[60:61]
	;; [unrolled: 1-line block ×5, first 2 shown]
	v_add_f64 v[224:225], v[32:33], -v[36:37]
	v_add_f64 v[70:71], v[70:71], -v[78:79]
	;; [unrolled: 1-line block ×3, first 2 shown]
	v_add_f64 v[199:200], v[139:140], v[228:229]
	v_add_f64 v[201:202], v[210:211], v[216:217]
	;; [unrolled: 1-line block ×3, first 2 shown]
	v_fma_f64 v[222:223], v[246:247], -0.5, v[4:5]
	v_fma_f64 v[4:5], v[197:198], -0.5, v[4:5]
	v_add_f64 v[28:29], v[32:33], v[28:29]
	v_add_f64 v[166:167], v[166:167], v[176:177]
	v_fma_f64 v[32:33], v[238:239], -0.5, v[230:231]
	v_fma_f64 v[110:111], v[62:63], s[16:17], v[110:111]
	v_add_f64 v[112:113], v[162:163], v[112:113]
	v_fma_f64 v[133:134], v[127:128], s[6:7], v[125:126]
	v_fma_f64 v[125:126], v[127:128], s[16:17], v[125:126]
	;; [unrolled: 1-line block ×4, first 2 shown]
	v_add_f64 v[50:51], v[50:51], v[54:55]
	v_fma_f64 v[176:177], v[48:49], -0.5, v[228:229]
	v_fma_f64 v[189:190], v[189:190], -0.5, v[228:229]
	;; [unrolled: 1-line block ×3, first 2 shown]
	v_fma_f64 v[34:35], v[16:17], s[16:17], v[20:21]
	v_fma_f64 v[48:49], v[74:75], s[6:7], v[153:154]
	;; [unrolled: 1-line block ×3, first 2 shown]
	v_add_f64 v[88:89], v[96:97], v[88:89]
	v_fma_f64 v[96:97], v[168:169], s[6:7], v[137:138]
	v_fma_f64 v[137:138], v[168:169], s[16:17], v[137:138]
	;; [unrolled: 1-line block ×4, first 2 shown]
	v_add_f64 v[10:11], v[10:11], v[52:53]
	v_fma_f64 v[52:53], v[183:184], s[16:17], v[185:186]
	v_fma_f64 v[185:186], v[183:184], s[6:7], v[185:186]
	;; [unrolled: 1-line block ×3, first 2 shown]
	v_add_f64 v[80:81], v[80:81], v[92:93]
	v_fma_f64 v[92:93], v[208:209], s[6:7], v[205:206]
	v_fma_f64 v[205:206], v[208:209], s[16:17], v[205:206]
	v_add_f64 v[220:221], v[242:243], v[244:245]
	v_fma_f64 v[244:245], v[108:109], s[6:7], v[12:13]
	v_fma_f64 v[246:247], v[108:109], s[16:17], v[12:13]
	;; [unrolled: 1-line block ×6, first 2 shown]
	v_add_f64 v[248:249], v[68:69], -v[76:77]
	v_add_f64 v[68:69], v[68:69], v[240:241]
	v_fma_f64 v[193:194], v[187:188], s[16:17], v[193:194]
	v_add_f64 v[30:31], v[30:31], v[38:39]
	v_fma_f64 v[38:39], v[224:225], s[16:17], v[214:215]
	v_add_f64 v[195:196], v[40:41], -v[36:37]
	v_add_f64 v[172:173], v[90:91], -v[145:146]
	;; [unrolled: 1-line block ×3, first 2 shown]
	v_add_f64 v[210:211], v[106:107], v[147:148]
	v_fma_f64 v[20:21], v[16:17], s[6:7], v[20:21]
	v_fma_f64 v[238:239], v[70:71], s[16:17], v[4:5]
	v_fma_f64 v[240:241], v[70:71], s[6:7], v[4:5]
	v_add_f64 v[28:29], v[28:29], v[36:37]
	v_fma_f64 v[36:37], v[226:227], s[16:17], v[32:33]
	v_fma_f64 v[32:33], v[226:227], s[6:7], v[32:33]
	v_fma_f64 v[64:65], v[22:23], s[8:9], v[110:111]
	v_add_f64 v[4:5], v[174:175], v[112:113]
	v_fma_f64 v[110:111], v[123:124], s[8:9], v[133:134]
	v_fma_f64 v[112:113], v[123:124], s[14:15], v[125:126]
	v_fma_f64 v[123:124], v[127:128], s[8:9], v[162:163]
	v_fma_f64 v[26:27], v[127:128], s[14:15], v[26:27]
	v_fma_f64 v[34:35], v[74:75], s[14:15], v[34:35]
	;; [unrolled: 1-line block ×3, first 2 shown]
	v_add_f64 v[24:25], v[131:132], v[88:89]
	v_fma_f64 v[88:89], v[119:120], s[8:9], v[96:97]
	v_fma_f64 v[96:97], v[119:120], s[14:15], v[137:138]
	;; [unrolled: 1-line block ×4, first 2 shown]
	v_add_f64 v[22:23], v[10:11], v[44:45]
	v_fma_f64 v[52:53], v[187:188], s[14:15], v[52:53]
	v_fma_f64 v[127:128], v[187:188], s[8:9], v[185:186]
	;; [unrolled: 1-line block ×3, first 2 shown]
	v_add_f64 v[44:45], v[82:83], v[80:81]
	v_fma_f64 v[82:83], v[151:152], s[14:15], v[205:206]
	v_fma_f64 v[133:134], v[72:73], s[4:5], v[62:63]
	;; [unrolled: 1-line block ×3, first 2 shown]
	v_add_f64 v[6:7], v[0:1], v[106:107]
	v_add_f64 v[203:204], v[139:140], -v[143:144]
	v_add_f64 v[68:69], v[76:77], v[68:69]
	v_fma_f64 v[153:154], v[183:184], s[8:9], v[193:194]
	v_fma_f64 v[80:81], v[151:152], s[8:9], v[92:93]
	v_fma_f64 v[151:152], v[232:233], s[14:15], v[38:39]
	v_add_f64 v[254:255], v[100:101], -v[102:103]
	v_fma_f64 v[242:243], v[18:19], s[6:7], v[114:115]
	v_fma_f64 v[114:115], v[18:19], s[16:17], v[114:115]
	v_add_f64 v[2:3], v[50:51], v[46:47]
	v_fma_f64 v[50:51], v[74:75], s[8:9], v[20:21]
	v_fma_f64 v[74:75], v[16:17], s[14:15], v[48:49]
	v_add_f64 v[46:47], v[28:29], v[40:41]
	v_fma_f64 v[187:188], v[18:19], s[14:15], v[36:37]
	v_fma_f64 v[193:194], v[18:19], s[8:9], v[32:33]
	;; [unrolled: 1-line block ×17, first 2 shown]
	v_add_f64 v[82:83], v[102:103], -v[100:101]
	v_fma_f64 v[96:97], v[8:9], s[16:17], v[164:165]
	v_fma_f64 v[110:111], v[8:9], s[6:7], v[164:165]
	v_add_f64 v[98:99], v[98:99], v[170:171]
	v_add_f64 v[112:113], v[135:136], -v[139:140]
	v_add_f64 v[117:118], v[141:142], -v[143:144]
	v_fma_f64 v[119:120], v[172:173], s[16:17], v[176:177]
	v_fma_f64 v[123:124], v[172:173], s[6:7], v[176:177]
	v_add_f64 v[125:126], v[139:140], -v[135:136]
	v_add_f64 v[127:128], v[143:144], -v[141:142]
	v_fma_f64 v[129:130], v[181:182], s[6:7], v[189:190]
	v_fma_f64 v[137:138], v[181:182], s[16:17], v[189:190]
	v_add_f64 v[139:140], v[135:136], v[199:200]
	v_fma_f64 v[0:1], v[210:211], -0.5, v[0:1]
	v_add_f64 v[135:136], v[135:136], -v[141:142]
	v_add_f64 v[6:7], v[90:91], v[6:7]
	v_add_f64 v[42:43], v[30:31], v[42:43]
	;; [unrolled: 1-line block ×3, first 2 shown]
	v_fma_f64 v[20:21], v[72:73], s[4:5], v[64:65]
	v_fma_f64 v[30:31], v[149:150], s[4:5], v[88:89]
	;; [unrolled: 1-line block ×4, first 2 shown]
	v_add_f64 v[149:150], v[106:107], -v[90:91]
	v_add_f64 v[151:152], v[147:148], -v[145:146]
	v_fma_f64 v[153:154], v[203:204], s[6:7], v[197:198]
	v_add_f64 v[94:95], v[94:95], v[121:122]
	v_add_f64 v[121:122], v[252:253], v[254:255]
	v_fma_f64 v[157:158], v[8:9], s[8:9], v[244:245]
	v_fma_f64 v[8:9], v[8:9], s[14:15], v[246:247]
	;; [unrolled: 1-line block ×4, first 2 shown]
	v_add_f64 v[82:83], v[155:156], v[82:83]
	v_fma_f64 v[155:156], v[108:109], s[8:9], v[96:97]
	v_fma_f64 v[108:109], v[108:109], s[14:15], v[110:111]
	v_add_f64 v[110:111], v[98:99], v[100:101]
	v_add_f64 v[112:113], v[112:113], v[117:118]
	v_fma_f64 v[117:118], v[181:182], s[14:15], v[119:120]
	v_fma_f64 v[119:120], v[181:182], s[8:9], v[123:124]
	v_add_f64 v[123:124], v[125:126], v[127:128]
	v_fma_f64 v[125:126], v[172:173], s[14:15], v[129:130]
	v_fma_f64 v[127:128], v[172:173], s[8:9], v[137:138]
	v_add_f64 v[129:130], v[141:142], v[139:140]
	v_add_f64 v[106:107], v[90:91], -v[106:107]
	v_add_f64 v[137:138], v[145:146], -v[147:148]
	v_fma_f64 v[139:140], v[135:136], s[6:7], v[0:1]
	v_fma_f64 v[0:1], v[135:136], s[16:17], v[0:1]
	;; [unrolled: 1-line block ×3, first 2 shown]
	v_add_f64 v[6:7], v[6:7], v[145:146]
	v_add_f64 v[149:150], v[149:150], v[151:152]
	v_fma_f64 v[151:152], v[135:136], s[14:15], v[153:154]
	v_fma_f64 v[90:91], v[121:122], s[4:5], v[8:9]
	v_mul_hi_u32 v8, 0x57619f1, v180
	v_fma_f64 v[96:97], v[104:105], s[4:5], v[205:206]
	v_fma_f64 v[100:101], v[104:105], s[4:5], v[114:115]
	v_add_f64 v[104:105], v[86:87], v[94:95]
	v_fma_f64 v[94:95], v[82:83], s[4:5], v[155:156]
	v_fma_f64 v[98:99], v[82:83], s[4:5], v[108:109]
	v_add_f64 v[102:103], v[110:111], v[102:103]
	v_fma_f64 v[108:109], v[112:113], s[4:5], v[117:118]
	v_lshrrev_b32_e32 v110, 4, v8
	v_fma_f64 v[112:113], v[112:113], s[4:5], v[119:120]
	v_fma_f64 v[119:120], v[123:124], s[4:5], v[125:126]
	;; [unrolled: 1-line block ×3, first 2 shown]
	v_add_f64 v[127:128], v[143:144], v[129:130]
	v_add_nc_u32_e32 v129, 0x7d, v180
	v_add_f64 v[8:9], v[106:107], v[137:138]
	v_fma_f64 v[82:83], v[203:204], s[8:9], v[139:140]
	v_fma_f64 v[0:1], v[203:204], s[14:15], v[0:1]
	v_fma_f64 v[114:115], v[135:136], s[8:9], v[141:142]
	v_mul_u32_u24_e32 v106, 0x2ee, v110
	v_add_f64 v[125:126], v[6:7], v[147:148]
	v_lshlrev_b64 v[6:7], 4, v[160:161]
	v_fma_f64 v[86:87], v[121:122], s[4:5], v[157:158]
	v_fma_f64 v[121:122], v[149:150], s[4:5], v[151:152]
	v_sub_nc_u32_e32 v106, v180, v106
	v_mul_hi_u32 v107, 0x57619f1, v129
	v_fma_f64 v[92:93], v[208:209], s[8:9], v[234:235]
	v_add_co_u32 v84, vcc_lo, v84, v6
	v_lshlrev_b32_e32 v106, 4, v106
	v_add_co_ci_u32_e32 v85, vcc_lo, v85, v7, vcc_lo
	v_fma_f64 v[236:237], v[232:233], s[6:7], v[212:213]
	v_lshrrev_b32_e32 v130, 4, v107
	v_add_co_u32 v6, vcc_lo, v84, v106
	v_add_co_ci_u32_e32 v7, vcc_lo, 0, v85, vcc_lo
	v_fma_f64 v[106:107], v[8:9], s[4:5], v[82:83]
	v_fma_f64 v[110:111], v[8:9], s[4:5], v[0:1]
	;; [unrolled: 1-line block ×3, first 2 shown]
	v_add_co_u32 v0, vcc_lo, 0x2800, v6
	v_add_co_ci_u32_e32 v1, vcc_lo, 0, v7, vcc_lo
	v_mul_u32_u24_e32 v8, 0x2ee, v130
	global_store_dwordx4 v[6:7], v[125:128], off
	global_store_dwordx4 v[0:1], v[121:124], off offset:1760
	v_add_co_u32 v0, vcc_lo, 0x5800, v6
	v_add_co_ci_u32_e32 v1, vcc_lo, 0, v7, vcc_lo
	v_sub_nc_u32_e32 v82, v129, v8
	v_add_co_u32 v8, vcc_lo, 0x8800, v6
	v_add_co_ci_u32_e32 v9, vcc_lo, 0, v7, vcc_lo
	v_fma_f64 v[212:213], v[232:233], s[16:17], v[212:213]
	v_fma_f64 v[76:77], v[248:249], s[6:7], v[222:223]
	v_add_co_u32 v6, vcc_lo, 0xb800, v6
	v_mad_u32_u24 v115, 0xea6, v130, v82
	v_add_co_ci_u32_e32 v7, vcc_lo, 0, v7, vcc_lo
	v_fma_f64 v[214:215], v[224:225], s[6:7], v[214:215]
	v_fma_f64 v[222:223], v[248:249], s[16:17], v[222:223]
	v_add_nc_u32_e32 v82, 0x2ee, v115
	v_mov_b32_e32 v83, v116
	global_store_dwordx4 v[0:1], v[110:113], off offset:1472
	v_lshlrev_b64 v[0:1], 4, v[115:116]
	global_store_dwordx4 v[8:9], v[106:109], off offset:1184
	global_store_dwordx4 v[6:7], v[117:120], off offset:896
	v_add_nc_u32_e32 v106, 0xfa, v180
	v_lshlrev_b64 v[6:7], 4, v[82:83]
	v_add_nc_u32_e32 v8, 0x5dc, v115
	v_mov_b32_e32 v9, v116
	v_add_co_u32 v0, vcc_lo, v84, v0
	v_mul_hi_u32 v107, 0x57619f1, v106
	v_add_co_ci_u32_e32 v1, vcc_lo, v85, v1, vcc_lo
	v_fma_f64 v[36:37], v[58:59], s[4:5], v[50:51]
	v_fma_f64 v[58:59], v[201:202], s[4:5], v[92:93]
	;; [unrolled: 1-line block ×4, first 2 shown]
	v_add_co_u32 v6, vcc_lo, v84, v6
	v_add_co_ci_u32_e32 v7, vcc_lo, v85, v7, vcc_lo
	v_add_nc_u32_e32 v82, 0x8ca, v115
	global_store_dwordx4 v[0:1], v[102:105], off
	v_lshrrev_b32_e32 v102, 4, v107
	v_lshlrev_b64 v[0:1], 4, v[8:9]
	v_add_f64 v[195:196], v[250:251], v[195:196]
	v_fma_f64 v[174:175], v[224:225], s[8:9], v[212:213]
	v_fma_f64 v[78:79], v[70:71], s[8:9], v[76:77]
	;; [unrolled: 1-line block ×3, first 2 shown]
	v_add_nc_u32_e32 v115, 0xbb8, v115
	global_store_dwordx4 v[6:7], v[98:101], off
	v_lshlrev_b64 v[6:7], 4, v[82:83]
	v_mul_u32_u24_e32 v82, 0x2ee, v102
	v_add_co_u32 v0, vcc_lo, v84, v0
	v_lshlrev_b64 v[8:9], 4, v[115:116]
	v_fma_f64 v[162:163], v[232:233], s[8:9], v[214:215]
	v_fma_f64 v[70:71], v[70:71], s[14:15], v[222:223]
	v_add_co_ci_u32_e32 v1, vcc_lo, v85, v1, vcc_lo
	v_sub_nc_u32_e32 v82, v106, v82
	v_add_co_u32 v6, vcc_lo, v84, v6
	v_add_co_ci_u32_e32 v7, vcc_lo, v85, v7, vcc_lo
	v_add_co_u32 v8, vcc_lo, v84, v8
	v_mad_u32_u24 v115, 0xea6, v102, v82
	v_add_co_ci_u32_e32 v9, vcc_lo, v85, v9, vcc_lo
	global_store_dwordx4 v[0:1], v[90:93], off
	global_store_dwordx4 v[6:7], v[86:89], off
	global_store_dwordx4 v[8:9], v[94:97], off
	v_lshlrev_b64 v[0:1], 4, v[115:116]
	v_add_nc_u32_e32 v86, 0x177, v180
	v_fma_f64 v[168:169], v[224:225], s[14:15], v[236:237]
	v_fma_f64 v[183:184], v[248:249], s[8:9], v[238:239]
	;; [unrolled: 1-line block ×7, first 2 shown]
	v_mul_hi_u32 v87, 0x57619f1, v86
	v_add_co_u32 v0, vcc_lo, v84, v0
	v_add_co_ci_u32_e32 v1, vcc_lo, v85, v1, vcc_lo
	v_add_nc_u32_e32 v82, 0x2ee, v115
	v_fma_f64 v[72:73], v[216:217], s[4:5], v[162:163]
	v_fma_f64 v[70:71], v[220:221], s[4:5], v[70:71]
	global_store_dwordx4 v[0:1], v[46:49], off
	v_lshrrev_b32_e32 v46, 4, v87
	v_lshlrev_b64 v[6:7], 4, v[82:83]
	v_add_nc_u32_e32 v8, 0x5dc, v115
	v_mov_b32_e32 v9, v116
	v_add_nc_u32_e32 v82, 0x8ca, v115
	v_mul_u32_u24_e32 v47, 0x2ee, v46
	v_add_nc_u32_e32 v115, 0xbb8, v115
	v_add_co_u32 v6, vcc_lo, v84, v6
	v_lshlrev_b64 v[0:1], 4, v[8:9]
	v_add_co_ci_u32_e32 v7, vcc_lo, v85, v7, vcc_lo
	v_sub_nc_u32_e32 v47, v86, v47
	v_fma_f64 v[76:77], v[218:219], s[4:5], v[168:169]
	v_fma_f64 v[74:75], v[195:196], s[4:5], v[183:184]
	v_add_co_u32 v0, vcc_lo, v84, v0
	global_store_dwordx4 v[6:7], v[78:81], off
	v_lshlrev_b64 v[6:7], 4, v[82:83]
	v_add_co_ci_u32_e32 v1, vcc_lo, v85, v1, vcc_lo
	v_lshlrev_b64 v[8:9], 4, v[115:116]
	v_mad_u32_u24 v115, 0xea6, v46, v47
	v_add_nc_u32_e32 v48, 0x1f4, v180
	v_add_co_u32 v6, vcc_lo, v84, v6
	global_store_dwordx4 v[0:1], v[70:73], off
	v_lshlrev_b64 v[0:1], 4, v[115:116]
	v_add_co_ci_u32_e32 v7, vcc_lo, v85, v7, vcc_lo
	v_add_co_u32 v8, vcc_lo, v84, v8
	v_add_co_ci_u32_e32 v9, vcc_lo, v85, v9, vcc_lo
	v_mul_hi_u32 v49, 0x57619f1, v48
	v_add_co_u32 v0, vcc_lo, v84, v0
	v_add_nc_u32_e32 v46, 0x2ee, v115
	v_mov_b32_e32 v47, v116
	v_add_co_ci_u32_e32 v1, vcc_lo, v85, v1, vcc_lo
	global_store_dwordx4 v[6:7], v[66:69], off
	global_store_dwordx4 v[8:9], v[74:77], off
	v_add_nc_u32_e32 v8, 0x5dc, v115
	v_lshlrev_b64 v[6:7], 4, v[46:47]
	global_store_dwordx4 v[0:1], v[42:45], off
	v_lshrrev_b32_e32 v42, 4, v49
	v_mov_b32_e32 v9, v116
	v_add_nc_u32_e32 v46, 0x8ca, v115
	v_add_nc_u32_e32 v115, 0xbb8, v115
	v_add_co_u32 v6, vcc_lo, v84, v6
	v_mul_u32_u24_e32 v43, 0x2ee, v42
	v_add_co_ci_u32_e32 v7, vcc_lo, v85, v7, vcc_lo
	v_lshlrev_b64 v[0:1], 4, v[8:9]
	v_lshlrev_b64 v[8:9], 4, v[115:116]
	v_sub_nc_u32_e32 v43, v48, v43
	global_store_dwordx4 v[6:7], v[62:65], off
	v_lshlrev_b64 v[6:7], 4, v[46:47]
	v_add_nc_u32_e32 v44, 0x271, v180
	v_add_co_u32 v0, vcc_lo, v84, v0
	v_add_co_ci_u32_e32 v1, vcc_lo, v85, v1, vcc_lo
	v_mad_u32_u24 v115, 0xea6, v42, v43
	v_add_co_u32 v6, vcc_lo, v84, v6
	v_add_co_ci_u32_e32 v7, vcc_lo, v85, v7, vcc_lo
	global_store_dwordx4 v[0:1], v[54:57], off
	v_lshlrev_b64 v[0:1], 4, v[115:116]
	v_add_co_u32 v8, vcc_lo, v84, v8
	v_add_nc_u32_e32 v42, 0x2ee, v115
	v_mov_b32_e32 v43, v116
	v_add_co_ci_u32_e32 v9, vcc_lo, v85, v9, vcc_lo
	v_mul_hi_u32 v45, 0x57619f1, v44
	v_add_co_u32 v0, vcc_lo, v84, v0
	global_store_dwordx4 v[6:7], v[50:53], off
	global_store_dwordx4 v[8:9], v[58:61], off
	v_lshlrev_b64 v[6:7], 4, v[42:43]
	v_add_co_ci_u32_e32 v1, vcc_lo, v85, v1, vcc_lo
	v_add_nc_u32_e32 v8, 0x5dc, v115
	v_mov_b32_e32 v9, v116
	v_add_nc_u32_e32 v42, 0x8ca, v115
	v_add_co_u32 v6, vcc_lo, v84, v6
	global_store_dwordx4 v[0:1], v[22:25], off
	v_lshrrev_b32_e32 v22, 4, v45
	v_add_co_ci_u32_e32 v7, vcc_lo, v85, v7, vcc_lo
	v_lshlrev_b64 v[0:1], 4, v[8:9]
	v_add_nc_u32_e32 v115, 0xbb8, v115
	v_mul_u32_u24_e32 v23, 0x2ee, v22
	global_store_dwordx4 v[6:7], v[38:41], off
	v_lshlrev_b64 v[6:7], 4, v[42:43]
	v_add_co_u32 v0, vcc_lo, v84, v0
	v_lshlrev_b64 v[8:9], 4, v[115:116]
	v_sub_nc_u32_e32 v23, v44, v23
	v_add_co_ci_u32_e32 v1, vcc_lo, v85, v1, vcc_lo
	v_add_co_u32 v6, vcc_lo, v84, v6
	v_add_co_ci_u32_e32 v7, vcc_lo, v85, v7, vcc_lo
	v_mad_u32_u24 v115, 0xea6, v22, v23
	v_add_co_u32 v8, vcc_lo, v84, v8
	v_add_co_ci_u32_e32 v9, vcc_lo, v85, v9, vcc_lo
	v_add_nc_u32_e32 v22, 0x2ee, v115
	v_mov_b32_e32 v23, v116
	global_store_dwordx4 v[0:1], v[34:37], off
	global_store_dwordx4 v[6:7], v[30:33], off
	v_lshlrev_b64 v[0:1], 4, v[115:116]
	global_store_dwordx4 v[8:9], v[26:29], off
	v_add_nc_u32_e32 v8, 0x5dc, v115
	v_mov_b32_e32 v9, v116
	v_lshlrev_b64 v[6:7], 4, v[22:23]
	v_add_nc_u32_e32 v22, 0x8ca, v115
	v_add_co_u32 v0, vcc_lo, v84, v0
	v_lshlrev_b64 v[8:9], 4, v[8:9]
	v_add_nc_u32_e32 v115, 0xbb8, v115
	v_add_co_ci_u32_e32 v1, vcc_lo, v85, v1, vcc_lo
	v_add_co_u32 v6, vcc_lo, v84, v6
	v_lshlrev_b64 v[22:23], 4, v[22:23]
	v_add_co_ci_u32_e32 v7, vcc_lo, v85, v7, vcc_lo
	v_add_co_u32 v8, vcc_lo, v84, v8
	v_lshlrev_b64 v[24:25], 4, v[115:116]
	v_add_co_ci_u32_e32 v9, vcc_lo, v85, v9, vcc_lo
	v_add_co_u32 v22, vcc_lo, v84, v22
	v_add_co_ci_u32_e32 v23, vcc_lo, v85, v23, vcc_lo
	v_add_co_u32 v24, vcc_lo, v84, v24
	v_add_co_ci_u32_e32 v25, vcc_lo, v85, v25, vcc_lo
	global_store_dwordx4 v[0:1], v[2:5], off
	global_store_dwordx4 v[6:7], v[18:21], off
	;; [unrolled: 1-line block ×5, first 2 shown]
.LBB0_15:
	s_endpgm
	.section	.rodata,"a",@progbits
	.p2align	6, 0x0
	.amdhsa_kernel fft_rtc_back_len3750_factors_3_5_5_10_5_wgs_125_tpt_125_halfLds_dp_op_CI_CI_unitstride_sbrr_dirReg
		.amdhsa_group_segment_fixed_size 0
		.amdhsa_private_segment_fixed_size 8
		.amdhsa_kernarg_size 104
		.amdhsa_user_sgpr_count 6
		.amdhsa_user_sgpr_private_segment_buffer 1
		.amdhsa_user_sgpr_dispatch_ptr 0
		.amdhsa_user_sgpr_queue_ptr 0
		.amdhsa_user_sgpr_kernarg_segment_ptr 1
		.amdhsa_user_sgpr_dispatch_id 0
		.amdhsa_user_sgpr_flat_scratch_init 0
		.amdhsa_user_sgpr_private_segment_size 0
		.amdhsa_wavefront_size32 1
		.amdhsa_uses_dynamic_stack 0
		.amdhsa_system_sgpr_private_segment_wavefront_offset 1
		.amdhsa_system_sgpr_workgroup_id_x 1
		.amdhsa_system_sgpr_workgroup_id_y 0
		.amdhsa_system_sgpr_workgroup_id_z 0
		.amdhsa_system_sgpr_workgroup_info 0
		.amdhsa_system_vgpr_workitem_id 0
		.amdhsa_next_free_vgpr 256
		.amdhsa_next_free_sgpr 32
		.amdhsa_reserve_vcc 1
		.amdhsa_reserve_flat_scratch 0
		.amdhsa_float_round_mode_32 0
		.amdhsa_float_round_mode_16_64 0
		.amdhsa_float_denorm_mode_32 3
		.amdhsa_float_denorm_mode_16_64 3
		.amdhsa_dx10_clamp 1
		.amdhsa_ieee_mode 1
		.amdhsa_fp16_overflow 0
		.amdhsa_workgroup_processor_mode 1
		.amdhsa_memory_ordered 1
		.amdhsa_forward_progress 0
		.amdhsa_shared_vgpr_count 0
		.amdhsa_exception_fp_ieee_invalid_op 0
		.amdhsa_exception_fp_denorm_src 0
		.amdhsa_exception_fp_ieee_div_zero 0
		.amdhsa_exception_fp_ieee_overflow 0
		.amdhsa_exception_fp_ieee_underflow 0
		.amdhsa_exception_fp_ieee_inexact 0
		.amdhsa_exception_int_div_zero 0
	.end_amdhsa_kernel
	.text
.Lfunc_end0:
	.size	fft_rtc_back_len3750_factors_3_5_5_10_5_wgs_125_tpt_125_halfLds_dp_op_CI_CI_unitstride_sbrr_dirReg, .Lfunc_end0-fft_rtc_back_len3750_factors_3_5_5_10_5_wgs_125_tpt_125_halfLds_dp_op_CI_CI_unitstride_sbrr_dirReg
                                        ; -- End function
	.section	.AMDGPU.csdata,"",@progbits
; Kernel info:
; codeLenInByte = 24996
; NumSgprs: 34
; NumVgprs: 256
; ScratchSize: 8
; MemoryBound: 1
; FloatMode: 240
; IeeeMode: 1
; LDSByteSize: 0 bytes/workgroup (compile time only)
; SGPRBlocks: 4
; VGPRBlocks: 31
; NumSGPRsForWavesPerEU: 34
; NumVGPRsForWavesPerEU: 256
; Occupancy: 4
; WaveLimiterHint : 1
; COMPUTE_PGM_RSRC2:SCRATCH_EN: 1
; COMPUTE_PGM_RSRC2:USER_SGPR: 6
; COMPUTE_PGM_RSRC2:TRAP_HANDLER: 0
; COMPUTE_PGM_RSRC2:TGID_X_EN: 1
; COMPUTE_PGM_RSRC2:TGID_Y_EN: 0
; COMPUTE_PGM_RSRC2:TGID_Z_EN: 0
; COMPUTE_PGM_RSRC2:TIDIG_COMP_CNT: 0
	.text
	.p2alignl 6, 3214868480
	.fill 48, 4, 3214868480
	.type	__hip_cuid_2afb17907277ad93,@object ; @__hip_cuid_2afb17907277ad93
	.section	.bss,"aw",@nobits
	.globl	__hip_cuid_2afb17907277ad93
__hip_cuid_2afb17907277ad93:
	.byte	0                               ; 0x0
	.size	__hip_cuid_2afb17907277ad93, 1

	.ident	"AMD clang version 19.0.0git (https://github.com/RadeonOpenCompute/llvm-project roc-6.4.0 25133 c7fe45cf4b819c5991fe208aaa96edf142730f1d)"
	.section	".note.GNU-stack","",@progbits
	.addrsig
	.addrsig_sym __hip_cuid_2afb17907277ad93
	.amdgpu_metadata
---
amdhsa.kernels:
  - .args:
      - .actual_access:  read_only
        .address_space:  global
        .offset:         0
        .size:           8
        .value_kind:     global_buffer
      - .offset:         8
        .size:           8
        .value_kind:     by_value
      - .actual_access:  read_only
        .address_space:  global
        .offset:         16
        .size:           8
        .value_kind:     global_buffer
      - .actual_access:  read_only
        .address_space:  global
        .offset:         24
        .size:           8
        .value_kind:     global_buffer
      - .actual_access:  read_only
        .address_space:  global
        .offset:         32
        .size:           8
        .value_kind:     global_buffer
      - .offset:         40
        .size:           8
        .value_kind:     by_value
      - .actual_access:  read_only
        .address_space:  global
        .offset:         48
        .size:           8
        .value_kind:     global_buffer
      - .actual_access:  read_only
        .address_space:  global
        .offset:         56
        .size:           8
        .value_kind:     global_buffer
      - .offset:         64
        .size:           4
        .value_kind:     by_value
      - .actual_access:  read_only
        .address_space:  global
        .offset:         72
        .size:           8
        .value_kind:     global_buffer
      - .actual_access:  read_only
        .address_space:  global
        .offset:         80
        .size:           8
        .value_kind:     global_buffer
      - .actual_access:  read_only
        .address_space:  global
        .offset:         88
        .size:           8
        .value_kind:     global_buffer
      - .actual_access:  write_only
        .address_space:  global
        .offset:         96
        .size:           8
        .value_kind:     global_buffer
    .group_segment_fixed_size: 0
    .kernarg_segment_align: 8
    .kernarg_segment_size: 104
    .language:       OpenCL C
    .language_version:
      - 2
      - 0
    .max_flat_workgroup_size: 125
    .name:           fft_rtc_back_len3750_factors_3_5_5_10_5_wgs_125_tpt_125_halfLds_dp_op_CI_CI_unitstride_sbrr_dirReg
    .private_segment_fixed_size: 8
    .sgpr_count:     34
    .sgpr_spill_count: 0
    .symbol:         fft_rtc_back_len3750_factors_3_5_5_10_5_wgs_125_tpt_125_halfLds_dp_op_CI_CI_unitstride_sbrr_dirReg.kd
    .uniform_work_group_size: 1
    .uses_dynamic_stack: false
    .vgpr_count:     256
    .vgpr_spill_count: 1
    .wavefront_size: 32
    .workgroup_processor_mode: 1
amdhsa.target:   amdgcn-amd-amdhsa--gfx1030
amdhsa.version:
  - 1
  - 2
...

	.end_amdgpu_metadata
